;; amdgpu-corpus repo=ROCm/rocBLAS kind=compiled arch=gfx1250 opt=O3
	.amdgcn_target "amdgcn-amd-amdhsa--gfx1250"
	.amdhsa_code_object_version 6
	.section	.text._ZL27rocblas_rotm_kernel_batchedILi512EPfPKfEviT0_lllS3_lllT1_lli,"axG",@progbits,_ZL27rocblas_rotm_kernel_batchedILi512EPfPKfEviT0_lllS3_lllT1_lli,comdat
	.globl	_ZL27rocblas_rotm_kernel_batchedILi512EPfPKfEviT0_lllS3_lllT1_lli ; -- Begin function _ZL27rocblas_rotm_kernel_batchedILi512EPfPKfEviT0_lllS3_lllT1_lli
	.p2align	8
	.type	_ZL27rocblas_rotm_kernel_batchedILi512EPfPKfEviT0_lllS3_lllT1_lli,@function
_ZL27rocblas_rotm_kernel_batchedILi512EPfPKfEviT0_lllS3_lllT1_lli: ; @_ZL27rocblas_rotm_kernel_batchedILi512EPfPKfEviT0_lllS3_lllT1_lli
; %bb.0:
	s_load_b32 s20, s[0:1], 0x60
	s_bfe_u32 s2, ttmp6, 0x40014
	s_lshr_b32 s3, ttmp7, 16
	s_add_co_i32 s2, s2, 1
	s_bfe_u32 s4, ttmp6, 0x40008
	s_mul_i32 s2, s3, s2
	s_getreg_b32 s21, hwreg(HW_REG_IB_STS2, 6, 4)
	s_add_co_i32 s4, s4, s2
	s_cmp_eq_u32 s21, 0
	s_cselect_b32 s2, s3, s4
	s_mov_b32 s3, 0
	s_wait_kmcnt 0x0
	s_cmp_ge_u32 s2, s20
	s_cbranch_scc1 .LBB0_13
; %bb.1:
	s_clause 0x3
	s_load_b32 s22, s[0:1], 0x0
	s_load_b128 s[24:27], s[0:1], 0x48
	s_load_b512 s[4:19], s[0:1], 0x8
	s_load_b32 s30, s[0:1], 0x74
	s_bfe_u32 s23, ttmp6, 0x4000c
	s_and_b32 s28, ttmp6, 15
	s_add_co_i32 s23, s23, 1
	v_mov_b32_e32 v5, 0
	s_mul_i32 s23, ttmp9, s23
	s_delay_alu instid0(SALU_CYCLE_1)
	s_add_co_i32 s31, s28, s23
	s_wait_kmcnt 0x0
	s_ashr_i32 s23, s22, 31
	s_lshl_b64 s[26:27], s[26:27], 2
	s_lshl_b64 s[28:29], s[6:7], 2
	;; [unrolled: 1-line block ×3, first 2 shown]
	s_and_b32 s6, s30, 0xffff
	s_cmp_eq_u32 s21, 0
	s_add_nc_u64 s[4:5], s[4:5], s[28:29]
	s_cselect_b32 s7, ttmp9, s31
	s_delay_alu instid0(SALU_CYCLE_1) | instskip(SKIP_1) | instid1(VALU_DEP_1)
	v_mad_u32 v4, s7, s6, v0
	s_load_b64 s[6:7], s[0:1], 0x58
	v_mul_u64_e32 v[0:1], s[8:9], v[4:5]
	v_mul_u64_e32 v[2:3], s[16:17], v[4:5]
	s_add_nc_u64 s[8:9], s[12:13], s[14:15]
	s_wait_xcnt 0x0
	v_cmp_gt_i64_e64 s0, s[22:23], v[4:5]
	s_delay_alu instid0(VALU_DEP_3) | instskip(NEXT) | instid1(VALU_DEP_3)
	v_lshl_add_u64 v[6:7], v[0:1], 2, s[4:5]
	v_lshl_add_u64 v[8:9], v[2:3], 2, s[8:9]
	s_add_nc_u64 s[4:5], s[24:25], s[26:27]
	s_branch .LBB0_4
.LBB0_2:                                ;   in Loop: Header=BB0_4 Depth=1
	global_store_b32 v[10:11], v0, off
.LBB0_3:                                ;   in Loop: Header=BB0_4 Depth=1
	s_wait_xcnt 0x0
	s_or_b32 exec_lo, exec_lo, s1
	s_add_co_i32 s2, s2, 0x10000
	s_delay_alu instid0(SALU_CYCLE_1)
	s_cmp_lt_u32 s2, s20
	s_cbranch_scc0 .LBB0_13
.LBB0_4:                                ; =>This Inner Loop Header: Depth=1
	s_wait_kmcnt 0x0
	s_mul_u64 s[8:9], s[6:7], s[2:3]
	s_delay_alu instid0(SALU_CYCLE_1) | instskip(NEXT) | instid1(SALU_CYCLE_1)
	s_lshl_b64 s[8:9], s[8:9], 2
	s_add_nc_u64 s[8:9], s[4:5], s[8:9]
	global_load_b128 v[0:3], v5, s[8:9]
	s_wait_loadcnt 0x1
	global_load_b32 v4, v5, s[8:9] offset:16
	s_wait_loadcnt 0x1
	s_wait_xcnt 0x0
	v_readfirstlane_b32 s8, v0
	s_cmp_neq_f32 s8, -2.0
	s_cselect_b32 s1, -1, 0
	s_delay_alu instid0(SALU_CYCLE_1) | instskip(NEXT) | instid1(SALU_CYCLE_1)
	s_and_b32 s9, s1, s0
	s_and_saveexec_b32 s1, s9
	s_cbranch_execz .LBB0_3
; %bb.5:                                ;   in Loop: Header=BB0_4 Depth=1
	s_mul_u64 s[12:13], s[10:11], s[2:3]
	s_mul_u64 s[14:15], s[18:19], s[2:3]
	v_lshl_add_u64 v[12:13], s[12:13], 2, v[6:7]
	v_lshl_add_u64 v[10:11], s[14:15], 2, v[8:9]
	s_cmp_nlt_f32 s8, 0
	s_mov_b32 s9, -1
                                        ; implicit-def: $vgpr0
	global_load_b32 v14, v[12:13], off
	global_load_b32 v15, v[10:11], off
	s_cbranch_scc0 .LBB0_10
; %bb.6:                                ;   in Loop: Header=BB0_4 Depth=1
	s_cmp_neq_f32 s8, 0
	s_cbranch_scc0 .LBB0_12
; %bb.7:                                ;   in Loop: Header=BB0_4 Depth=1
	s_wait_loadcnt 0x0
	v_dual_fma_f32 v16, v1, v14, v15 :: v_dual_fma_f32 v0, v4, v15, -v14
	global_store_b32 v[12:13], v16, off
	s_cbranch_execnz .LBB0_9
.LBB0_8:                                ;   in Loop: Header=BB0_4 Depth=1
	s_wait_loadcnt 0x0
	v_dual_fma_f32 v16, v3, v15, v14 :: v_dual_fma_f32 v0, v2, v14, v15
	global_store_b32 v[12:13], v16, off
.LBB0_9:                                ;   in Loop: Header=BB0_4 Depth=1
	s_mov_b32 s9, 0
.LBB0_10:                               ;   in Loop: Header=BB0_4 Depth=1
	s_delay_alu instid0(SALU_CYCLE_1)
	s_and_not1_b32 vcc_lo, exec_lo, s9
	s_cbranch_vccnz .LBB0_2
; %bb.11:                               ;   in Loop: Header=BB0_4 Depth=1
	v_dual_mov_b32 v0, v1 :: v_dual_mov_b32 v1, v3
	s_wait_loadcnt 0x2
	v_mov_b32_e32 v3, v4
	s_wait_loadcnt 0x0
	s_delay_alu instid0(VALU_DEP_2) | instskip(NEXT) | instid1(VALU_DEP_2)
	v_pk_mul_f32 v[0:1], v[0:1], v[14:15]
	v_pk_mul_f32 v[2:3], v[2:3], v[14:15]
	s_delay_alu instid0(VALU_DEP_1)
	v_dual_add_f32 v1, v0, v1 :: v_dual_add_f32 v0, v2, v3
	global_store_b32 v[12:13], v1, off
	s_branch .LBB0_2
.LBB0_12:                               ;   in Loop: Header=BB0_4 Depth=1
                                        ; implicit-def: $vgpr0
	s_branch .LBB0_8
.LBB0_13:
	s_endpgm
	.section	.rodata,"a",@progbits
	.p2align	6, 0x0
	.amdhsa_kernel _ZL27rocblas_rotm_kernel_batchedILi512EPfPKfEviT0_lllS3_lllT1_lli
		.amdhsa_group_segment_fixed_size 0
		.amdhsa_private_segment_fixed_size 0
		.amdhsa_kernarg_size 360
		.amdhsa_user_sgpr_count 2
		.amdhsa_user_sgpr_dispatch_ptr 0
		.amdhsa_user_sgpr_queue_ptr 0
		.amdhsa_user_sgpr_kernarg_segment_ptr 1
		.amdhsa_user_sgpr_dispatch_id 0
		.amdhsa_user_sgpr_kernarg_preload_length 0
		.amdhsa_user_sgpr_kernarg_preload_offset 0
		.amdhsa_user_sgpr_private_segment_size 0
		.amdhsa_wavefront_size32 1
		.amdhsa_uses_dynamic_stack 0
		.amdhsa_enable_private_segment 0
		.amdhsa_system_sgpr_workgroup_id_x 1
		.amdhsa_system_sgpr_workgroup_id_y 0
		.amdhsa_system_sgpr_workgroup_id_z 1
		.amdhsa_system_sgpr_workgroup_info 0
		.amdhsa_system_vgpr_workitem_id 0
		.amdhsa_next_free_vgpr 17
		.amdhsa_next_free_sgpr 32
		.amdhsa_named_barrier_count 0
		.amdhsa_reserve_vcc 1
		.amdhsa_float_round_mode_32 0
		.amdhsa_float_round_mode_16_64 0
		.amdhsa_float_denorm_mode_32 3
		.amdhsa_float_denorm_mode_16_64 3
		.amdhsa_fp16_overflow 0
		.amdhsa_memory_ordered 1
		.amdhsa_forward_progress 1
		.amdhsa_inst_pref_size 5
		.amdhsa_round_robin_scheduling 0
		.amdhsa_exception_fp_ieee_invalid_op 0
		.amdhsa_exception_fp_denorm_src 0
		.amdhsa_exception_fp_ieee_div_zero 0
		.amdhsa_exception_fp_ieee_overflow 0
		.amdhsa_exception_fp_ieee_underflow 0
		.amdhsa_exception_fp_ieee_inexact 0
		.amdhsa_exception_int_div_zero 0
	.end_amdhsa_kernel
	.section	.text._ZL27rocblas_rotm_kernel_batchedILi512EPfPKfEviT0_lllS3_lllT1_lli,"axG",@progbits,_ZL27rocblas_rotm_kernel_batchedILi512EPfPKfEviT0_lllS3_lllT1_lli,comdat
.Lfunc_end0:
	.size	_ZL27rocblas_rotm_kernel_batchedILi512EPfPKfEviT0_lllS3_lllT1_lli, .Lfunc_end0-_ZL27rocblas_rotm_kernel_batchedILi512EPfPKfEviT0_lllS3_lllT1_lli
                                        ; -- End function
	.set _ZL27rocblas_rotm_kernel_batchedILi512EPfPKfEviT0_lllS3_lllT1_lli.num_vgpr, 17
	.set _ZL27rocblas_rotm_kernel_batchedILi512EPfPKfEviT0_lllS3_lllT1_lli.num_agpr, 0
	.set _ZL27rocblas_rotm_kernel_batchedILi512EPfPKfEviT0_lllS3_lllT1_lli.numbered_sgpr, 32
	.set _ZL27rocblas_rotm_kernel_batchedILi512EPfPKfEviT0_lllS3_lllT1_lli.num_named_barrier, 0
	.set _ZL27rocblas_rotm_kernel_batchedILi512EPfPKfEviT0_lllS3_lllT1_lli.private_seg_size, 0
	.set _ZL27rocblas_rotm_kernel_batchedILi512EPfPKfEviT0_lllS3_lllT1_lli.uses_vcc, 1
	.set _ZL27rocblas_rotm_kernel_batchedILi512EPfPKfEviT0_lllS3_lllT1_lli.uses_flat_scratch, 0
	.set _ZL27rocblas_rotm_kernel_batchedILi512EPfPKfEviT0_lllS3_lllT1_lli.has_dyn_sized_stack, 0
	.set _ZL27rocblas_rotm_kernel_batchedILi512EPfPKfEviT0_lllS3_lllT1_lli.has_recursion, 0
	.set _ZL27rocblas_rotm_kernel_batchedILi512EPfPKfEviT0_lllS3_lllT1_lli.has_indirect_call, 0
	.section	.AMDGPU.csdata,"",@progbits
; Kernel info:
; codeLenInByte = 592
; TotalNumSgprs: 34
; NumVgprs: 17
; ScratchSize: 0
; MemoryBound: 0
; FloatMode: 240
; IeeeMode: 1
; LDSByteSize: 0 bytes/workgroup (compile time only)
; SGPRBlocks: 0
; VGPRBlocks: 1
; NumSGPRsForWavesPerEU: 34
; NumVGPRsForWavesPerEU: 17
; NamedBarCnt: 0
; Occupancy: 16
; WaveLimiterHint : 0
; COMPUTE_PGM_RSRC2:SCRATCH_EN: 0
; COMPUTE_PGM_RSRC2:USER_SGPR: 2
; COMPUTE_PGM_RSRC2:TRAP_HANDLER: 0
; COMPUTE_PGM_RSRC2:TGID_X_EN: 1
; COMPUTE_PGM_RSRC2:TGID_Y_EN: 0
; COMPUTE_PGM_RSRC2:TGID_Z_EN: 1
; COMPUTE_PGM_RSRC2:TIDIG_COMP_CNT: 0
	.section	.text._ZL27rocblas_rotm_kernel_regularILi512EffEviPT0_lllS1_lllT1_S2_S2_S2_S2_,"axG",@progbits,_ZL27rocblas_rotm_kernel_regularILi512EffEviPT0_lllS1_lllT1_S2_S2_S2_S2_,comdat
	.globl	_ZL27rocblas_rotm_kernel_regularILi512EffEviPT0_lllS1_lllT1_S2_S2_S2_S2_ ; -- Begin function _ZL27rocblas_rotm_kernel_regularILi512EffEviPT0_lllS1_lllT1_S2_S2_S2_S2_
	.p2align	8
	.type	_ZL27rocblas_rotm_kernel_regularILi512EffEviPT0_lllS1_lllT1_S2_S2_S2_S2_,@function
_ZL27rocblas_rotm_kernel_regularILi512EffEviPT0_lllS1_lllT1_S2_S2_S2_S2_: ; @_ZL27rocblas_rotm_kernel_regularILi512EffEviPT0_lllS1_lllT1_S2_S2_S2_S2_
; %bb.0:
	s_clause 0x2
	s_load_b32 s2, s[0:1], 0x0
	s_load_b32 s8, s[0:1], 0x6c
	s_load_b128 s[4:7], s[0:1], 0x48
	s_bfe_u32 s3, ttmp6, 0x4000c
	s_and_b32 s9, ttmp6, 15
	s_add_co_i32 s3, s3, 1
	s_getreg_b32 s10, hwreg(HW_REG_IB_STS2, 6, 4)
	s_mul_i32 s11, ttmp9, s3
	v_mov_b32_e32 v1, 0
	s_add_co_i32 s9, s9, s11
	s_wait_kmcnt 0x0
	s_ashr_i32 s3, s2, 31
	s_and_b32 s8, s8, 0xffff
	s_cmp_eq_u32 s10, 0
	s_cselect_b32 s9, ttmp9, s9
	s_cmp_neq_f32 s4, -2.0
	v_mad_u32 v0, s9, s8, v0
	s_delay_alu instid0(VALU_DEP_1) | instskip(SKIP_1) | instid1(SALU_CYCLE_1)
	v_cmp_gt_i64_e32 vcc_lo, s[2:3], v[0:1]
	s_cselect_b32 s2, -1, 0
	s_and_b32 s2, s2, vcc_lo
	s_delay_alu instid0(SALU_CYCLE_1)
	s_and_saveexec_b32 s3, s2
	s_cbranch_execz .LBB1_9
; %bb.1:
	s_clause 0x1
	s_load_b64 s[2:3], s[0:1], 0x18
	s_load_b64 s[8:9], s[0:1], 0x38
	s_wait_kmcnt 0x0
	v_mul_u64_e32 v[2:3], s[2:3], v[0:1]
	v_mul_u64_e32 v[0:1], s[8:9], v[0:1]
	s_clause 0x1
	s_load_b128 s[8:11], s[0:1], 0x8
	s_load_b128 s[12:15], s[0:1], 0x28
	s_wait_kmcnt 0x0
	s_lshl_b64 s[2:3], s[10:11], 2
	s_lshl_b64 s[10:11], s[14:15], 2
	s_add_nc_u64 s[2:3], s[8:9], s[2:3]
	s_add_nc_u64 s[8:9], s[12:13], s[10:11]
	s_load_b32 s0, s[0:1], 0x58
	s_cmp_nlt_f32 s4, 0
	s_delay_alu instid0(VALU_DEP_2) | instskip(NEXT) | instid1(VALU_DEP_2)
	v_lshl_add_u64 v[2:3], v[2:3], 2, s[2:3]
	v_lshl_add_u64 v[0:1], v[0:1], 2, s[8:9]
	global_load_b32 v4, v[2:3], off
	global_load_b32 v5, v[0:1], off
	s_cbranch_scc0 .LBB1_6
; %bb.2:
	s_cmp_neq_f32 s4, 0
	s_mov_b32 s1, 0
	s_cbranch_scc0 .LBB1_10
; %bb.3:
	s_wait_loadcnt 0x0
	s_wait_kmcnt 0x0
	v_dual_fma_f32 v7, s5, v4, v5 :: v_dual_fma_f32 v6, s0, v5, -v4
	global_store_b32 v[2:3], v7, off
	s_and_not1_b32 vcc_lo, exec_lo, s1
	s_cbranch_vccnz .LBB1_5
.LBB1_4:
	s_wait_loadcnt 0x0
	v_dual_fma_f32 v7, s7, v5, v4 :: v_dual_fma_f32 v6, s6, v4, v5
	global_store_b32 v[2:3], v7, off
.LBB1_5:
	s_cbranch_execz .LBB1_7
	s_branch .LBB1_8
.LBB1_6:
                                        ; implicit-def: $vgpr6
.LBB1_7:
	s_wait_xcnt 0x0
	v_dual_mov_b32 v6, s5 :: v_dual_mov_b32 v7, s7
	s_wait_kmcnt 0x0
	v_dual_mov_b32 v8, s6 :: v_dual_mov_b32 v9, s0
	s_wait_loadcnt 0x0
	s_delay_alu instid0(VALU_DEP_2) | instskip(NEXT) | instid1(VALU_DEP_2)
	v_pk_mul_f32 v[6:7], v[6:7], v[4:5]
	v_pk_mul_f32 v[4:5], v[8:9], v[4:5]
	s_delay_alu instid0(VALU_DEP_1)
	v_dual_add_f32 v7, v6, v7 :: v_dual_add_f32 v6, v4, v5
	global_store_b32 v[2:3], v7, off
.LBB1_8:
	global_store_b32 v[0:1], v6, off
.LBB1_9:
	s_endpgm
.LBB1_10:
                                        ; implicit-def: $vgpr6
	s_branch .LBB1_4
	.section	.rodata,"a",@progbits
	.p2align	6, 0x0
	.amdhsa_kernel _ZL27rocblas_rotm_kernel_regularILi512EffEviPT0_lllS1_lllT1_S2_S2_S2_S2_
		.amdhsa_group_segment_fixed_size 0
		.amdhsa_private_segment_fixed_size 0
		.amdhsa_kernarg_size 352
		.amdhsa_user_sgpr_count 2
		.amdhsa_user_sgpr_dispatch_ptr 0
		.amdhsa_user_sgpr_queue_ptr 0
		.amdhsa_user_sgpr_kernarg_segment_ptr 1
		.amdhsa_user_sgpr_dispatch_id 0
		.amdhsa_user_sgpr_kernarg_preload_length 0
		.amdhsa_user_sgpr_kernarg_preload_offset 0
		.amdhsa_user_sgpr_private_segment_size 0
		.amdhsa_wavefront_size32 1
		.amdhsa_uses_dynamic_stack 0
		.amdhsa_enable_private_segment 0
		.amdhsa_system_sgpr_workgroup_id_x 1
		.amdhsa_system_sgpr_workgroup_id_y 0
		.amdhsa_system_sgpr_workgroup_id_z 0
		.amdhsa_system_sgpr_workgroup_info 0
		.amdhsa_system_vgpr_workitem_id 0
		.amdhsa_next_free_vgpr 10
		.amdhsa_next_free_sgpr 16
		.amdhsa_named_barrier_count 0
		.amdhsa_reserve_vcc 1
		.amdhsa_float_round_mode_32 0
		.amdhsa_float_round_mode_16_64 0
		.amdhsa_float_denorm_mode_32 3
		.amdhsa_float_denorm_mode_16_64 3
		.amdhsa_fp16_overflow 0
		.amdhsa_memory_ordered 1
		.amdhsa_forward_progress 1
		.amdhsa_inst_pref_size 4
		.amdhsa_round_robin_scheduling 0
		.amdhsa_exception_fp_ieee_invalid_op 0
		.amdhsa_exception_fp_denorm_src 0
		.amdhsa_exception_fp_ieee_div_zero 0
		.amdhsa_exception_fp_ieee_overflow 0
		.amdhsa_exception_fp_ieee_underflow 0
		.amdhsa_exception_fp_ieee_inexact 0
		.amdhsa_exception_int_div_zero 0
	.end_amdhsa_kernel
	.section	.text._ZL27rocblas_rotm_kernel_regularILi512EffEviPT0_lllS1_lllT1_S2_S2_S2_S2_,"axG",@progbits,_ZL27rocblas_rotm_kernel_regularILi512EffEviPT0_lllS1_lllT1_S2_S2_S2_S2_,comdat
.Lfunc_end1:
	.size	_ZL27rocblas_rotm_kernel_regularILi512EffEviPT0_lllS1_lllT1_S2_S2_S2_S2_, .Lfunc_end1-_ZL27rocblas_rotm_kernel_regularILi512EffEviPT0_lllS1_lllT1_S2_S2_S2_S2_
                                        ; -- End function
	.set _ZL27rocblas_rotm_kernel_regularILi512EffEviPT0_lllS1_lllT1_S2_S2_S2_S2_.num_vgpr, 10
	.set _ZL27rocblas_rotm_kernel_regularILi512EffEviPT0_lllS1_lllT1_S2_S2_S2_S2_.num_agpr, 0
	.set _ZL27rocblas_rotm_kernel_regularILi512EffEviPT0_lllS1_lllT1_S2_S2_S2_S2_.numbered_sgpr, 16
	.set _ZL27rocblas_rotm_kernel_regularILi512EffEviPT0_lllS1_lllT1_S2_S2_S2_S2_.num_named_barrier, 0
	.set _ZL27rocblas_rotm_kernel_regularILi512EffEviPT0_lllS1_lllT1_S2_S2_S2_S2_.private_seg_size, 0
	.set _ZL27rocblas_rotm_kernel_regularILi512EffEviPT0_lllS1_lllT1_S2_S2_S2_S2_.uses_vcc, 1
	.set _ZL27rocblas_rotm_kernel_regularILi512EffEviPT0_lllS1_lllT1_S2_S2_S2_S2_.uses_flat_scratch, 0
	.set _ZL27rocblas_rotm_kernel_regularILi512EffEviPT0_lllS1_lllT1_S2_S2_S2_S2_.has_dyn_sized_stack, 0
	.set _ZL27rocblas_rotm_kernel_regularILi512EffEviPT0_lllS1_lllT1_S2_S2_S2_S2_.has_recursion, 0
	.set _ZL27rocblas_rotm_kernel_regularILi512EffEviPT0_lllS1_lllT1_S2_S2_S2_S2_.has_indirect_call, 0
	.section	.AMDGPU.csdata,"",@progbits
; Kernel info:
; codeLenInByte = 436
; TotalNumSgprs: 18
; NumVgprs: 10
; ScratchSize: 0
; MemoryBound: 0
; FloatMode: 240
; IeeeMode: 1
; LDSByteSize: 0 bytes/workgroup (compile time only)
; SGPRBlocks: 0
; VGPRBlocks: 0
; NumSGPRsForWavesPerEU: 18
; NumVGPRsForWavesPerEU: 10
; NamedBarCnt: 0
; Occupancy: 16
; WaveLimiterHint : 1
; COMPUTE_PGM_RSRC2:SCRATCH_EN: 0
; COMPUTE_PGM_RSRC2:USER_SGPR: 2
; COMPUTE_PGM_RSRC2:TRAP_HANDLER: 0
; COMPUTE_PGM_RSRC2:TGID_X_EN: 1
; COMPUTE_PGM_RSRC2:TGID_Y_EN: 0
; COMPUTE_PGM_RSRC2:TGID_Z_EN: 0
; COMPUTE_PGM_RSRC2:TIDIG_COMP_CNT: 0
	.section	.text._ZL27rocblas_rotm_kernel_batchedILi512EPdPKdEviT0_lllS3_lllT1_lli,"axG",@progbits,_ZL27rocblas_rotm_kernel_batchedILi512EPdPKdEviT0_lllS3_lllT1_lli,comdat
	.globl	_ZL27rocblas_rotm_kernel_batchedILi512EPdPKdEviT0_lllS3_lllT1_lli ; -- Begin function _ZL27rocblas_rotm_kernel_batchedILi512EPdPKdEviT0_lllS3_lllT1_lli
	.p2align	8
	.type	_ZL27rocblas_rotm_kernel_batchedILi512EPdPKdEviT0_lllS3_lllT1_lli,@function
_ZL27rocblas_rotm_kernel_batchedILi512EPdPKdEviT0_lllS3_lllT1_lli: ; @_ZL27rocblas_rotm_kernel_batchedILi512EPdPKdEviT0_lllS3_lllT1_lli
; %bb.0:
	s_load_b32 s20, s[0:1], 0x60
	s_bfe_u32 s2, ttmp6, 0x40014
	s_lshr_b32 s3, ttmp7, 16
	s_add_co_i32 s2, s2, 1
	s_bfe_u32 s4, ttmp6, 0x40008
	s_mul_i32 s2, s3, s2
	s_getreg_b32 s21, hwreg(HW_REG_IB_STS2, 6, 4)
	s_add_co_i32 s4, s4, s2
	s_cmp_eq_u32 s21, 0
	s_cselect_b32 s2, s3, s4
	s_mov_b32 s3, 0
	s_wait_kmcnt 0x0
	s_cmp_ge_u32 s2, s20
	s_cbranch_scc1 .LBB2_13
; %bb.1:
	s_clause 0x3
	s_load_b32 s22, s[0:1], 0x0
	s_load_b128 s[24:27], s[0:1], 0x48
	s_load_b512 s[4:19], s[0:1], 0x8
	s_load_b32 s30, s[0:1], 0x74
	s_bfe_u32 s23, ttmp6, 0x4000c
	s_and_b32 s28, ttmp6, 15
	s_add_co_i32 s23, s23, 1
	v_mov_b32_e32 v9, 0
	s_mul_i32 s23, ttmp9, s23
	s_delay_alu instid0(SALU_CYCLE_1)
	s_add_co_i32 s31, s28, s23
	s_wait_kmcnt 0x0
	s_ashr_i32 s23, s22, 31
	s_lshl_b64 s[26:27], s[26:27], 3
	s_lshl_b64 s[28:29], s[6:7], 3
	;; [unrolled: 1-line block ×3, first 2 shown]
	s_and_b32 s6, s30, 0xffff
	s_cmp_eq_u32 s21, 0
	s_add_nc_u64 s[4:5], s[4:5], s[28:29]
	s_cselect_b32 s7, ttmp9, s31
	s_delay_alu instid0(SALU_CYCLE_1) | instskip(SKIP_1) | instid1(VALU_DEP_1)
	v_mad_u32 v8, s7, s6, v0
	s_load_b64 s[6:7], s[0:1], 0x58
	v_mul_u64_e32 v[0:1], s[8:9], v[8:9]
	v_mul_u64_e32 v[2:3], s[16:17], v[8:9]
	s_add_nc_u64 s[8:9], s[12:13], s[14:15]
	s_wait_xcnt 0x0
	v_cmp_gt_i64_e64 s0, s[22:23], v[8:9]
	s_delay_alu instid0(VALU_DEP_3) | instskip(NEXT) | instid1(VALU_DEP_3)
	v_lshl_add_u64 v[10:11], v[0:1], 3, s[4:5]
	v_lshl_add_u64 v[12:13], v[2:3], 3, s[8:9]
	s_add_nc_u64 s[4:5], s[24:25], s[26:27]
	s_branch .LBB2_4
.LBB2_2:                                ;   in Loop: Header=BB2_4 Depth=1
	global_store_b64 v[16:17], v[24:25], off
.LBB2_3:                                ;   in Loop: Header=BB2_4 Depth=1
	s_wait_xcnt 0x0
	s_or_b32 exec_lo, exec_lo, s1
	s_add_co_i32 s2, s2, 0x10000
	s_delay_alu instid0(SALU_CYCLE_1)
	s_cmp_lt_u32 s2, s20
	s_cbranch_scc0 .LBB2_13
.LBB2_4:                                ; =>This Inner Loop Header: Depth=1
	s_wait_kmcnt 0x0
	s_mul_u64 s[8:9], s[6:7], s[2:3]
	s_delay_alu instid0(SALU_CYCLE_1) | instskip(NEXT) | instid1(SALU_CYCLE_1)
	s_lshl_b64 s[8:9], s[8:9], 3
	s_add_nc_u64 s[8:9], s[4:5], s[8:9]
	global_load_b128 v[4:7], v9, s[8:9]
	s_wait_loadcnt 0x2
	global_load_b128 v[0:3], v9, s[8:9] offset:16
	s_wait_loadcnt 0x2
	global_load_b64 v[14:15], v9, s[8:9] offset:32
	s_wait_loadcnt 0x2
	v_cmp_neq_f64_e32 vcc_lo, -2.0, v[4:5]
	s_wait_xcnt 0x0
	s_and_b32 s8, vcc_lo, s0
	s_delay_alu instid0(SALU_CYCLE_1)
	s_and_saveexec_b32 s1, s8
	s_cbranch_execz .LBB2_3
; %bb.5:                                ;   in Loop: Header=BB2_4 Depth=1
	s_mul_u64 s[8:9], s[10:11], s[2:3]
	s_mul_u64 s[12:13], s[18:19], s[2:3]
	v_lshl_add_u64 v[18:19], s[8:9], 3, v[10:11]
	v_lshl_add_u64 v[16:17], s[12:13], 3, v[12:13]
	v_cmp_ngt_f64_e32 vcc_lo, 0, v[4:5]
	s_mov_b32 s8, -1
                                        ; implicit-def: $vgpr24_vgpr25
	global_load_b64 v[20:21], v[18:19], off
	global_load_b64 v[22:23], v[16:17], off
	s_cbranch_vccz .LBB2_10
; %bb.6:                                ;   in Loop: Header=BB2_4 Depth=1
	v_cmp_neq_f64_e32 vcc_lo, 0, v[4:5]
	s_cbranch_vccz .LBB2_12
; %bb.7:                                ;   in Loop: Header=BB2_4 Depth=1
	s_wait_loadcnt 0x0
	v_fma_f64 v[4:5], v[6:7], v[20:21], v[22:23]
	v_fma_f64 v[24:25], v[14:15], v[22:23], -v[20:21]
	global_store_b64 v[18:19], v[4:5], off
	s_cbranch_execnz .LBB2_9
.LBB2_8:                                ;   in Loop: Header=BB2_4 Depth=1
	s_wait_loadcnt 0x0
	v_fma_f64 v[4:5], v[2:3], v[22:23], v[20:21]
	v_fma_f64 v[24:25], v[0:1], v[20:21], v[22:23]
	global_store_b64 v[18:19], v[4:5], off
.LBB2_9:                                ;   in Loop: Header=BB2_4 Depth=1
	s_mov_b32 s8, 0
.LBB2_10:                               ;   in Loop: Header=BB2_4 Depth=1
	s_delay_alu instid0(SALU_CYCLE_1)
	s_and_not1_b32 vcc_lo, exec_lo, s8
	s_cbranch_vccnz .LBB2_2
; %bb.11:                               ;   in Loop: Header=BB2_4 Depth=1
	s_wait_loadcnt 0x0
	v_mul_f64_e32 v[2:3], v[2:3], v[22:23]
	v_mul_f64_e32 v[24:25], v[14:15], v[22:23]
	s_delay_alu instid0(VALU_DEP_2) | instskip(NEXT) | instid1(VALU_DEP_2)
	v_fmac_f64_e32 v[2:3], v[6:7], v[20:21]
	v_fmac_f64_e32 v[24:25], v[0:1], v[20:21]
	global_store_b64 v[18:19], v[2:3], off
	s_branch .LBB2_2
.LBB2_12:                               ;   in Loop: Header=BB2_4 Depth=1
                                        ; implicit-def: $vgpr24_vgpr25
	s_and_not1_b32 vcc_lo, exec_lo, s8
	s_cbranch_vccz .LBB2_8
	s_branch .LBB2_9
.LBB2_13:
	s_endpgm
	.section	.rodata,"a",@progbits
	.p2align	6, 0x0
	.amdhsa_kernel _ZL27rocblas_rotm_kernel_batchedILi512EPdPKdEviT0_lllS3_lllT1_lli
		.amdhsa_group_segment_fixed_size 0
		.amdhsa_private_segment_fixed_size 0
		.amdhsa_kernarg_size 360
		.amdhsa_user_sgpr_count 2
		.amdhsa_user_sgpr_dispatch_ptr 0
		.amdhsa_user_sgpr_queue_ptr 0
		.amdhsa_user_sgpr_kernarg_segment_ptr 1
		.amdhsa_user_sgpr_dispatch_id 0
		.amdhsa_user_sgpr_kernarg_preload_length 0
		.amdhsa_user_sgpr_kernarg_preload_offset 0
		.amdhsa_user_sgpr_private_segment_size 0
		.amdhsa_wavefront_size32 1
		.amdhsa_uses_dynamic_stack 0
		.amdhsa_enable_private_segment 0
		.amdhsa_system_sgpr_workgroup_id_x 1
		.amdhsa_system_sgpr_workgroup_id_y 0
		.amdhsa_system_sgpr_workgroup_id_z 1
		.amdhsa_system_sgpr_workgroup_info 0
		.amdhsa_system_vgpr_workitem_id 0
		.amdhsa_next_free_vgpr 26
		.amdhsa_next_free_sgpr 32
		.amdhsa_named_barrier_count 0
		.amdhsa_reserve_vcc 1
		.amdhsa_float_round_mode_32 0
		.amdhsa_float_round_mode_16_64 0
		.amdhsa_float_denorm_mode_32 3
		.amdhsa_float_denorm_mode_16_64 3
		.amdhsa_fp16_overflow 0
		.amdhsa_memory_ordered 1
		.amdhsa_forward_progress 1
		.amdhsa_inst_pref_size 5
		.amdhsa_round_robin_scheduling 0
		.amdhsa_exception_fp_ieee_invalid_op 0
		.amdhsa_exception_fp_denorm_src 0
		.amdhsa_exception_fp_ieee_div_zero 0
		.amdhsa_exception_fp_ieee_overflow 0
		.amdhsa_exception_fp_ieee_underflow 0
		.amdhsa_exception_fp_ieee_inexact 0
		.amdhsa_exception_int_div_zero 0
	.end_amdhsa_kernel
	.section	.text._ZL27rocblas_rotm_kernel_batchedILi512EPdPKdEviT0_lllS3_lllT1_lli,"axG",@progbits,_ZL27rocblas_rotm_kernel_batchedILi512EPdPKdEviT0_lllS3_lllT1_lli,comdat
.Lfunc_end2:
	.size	_ZL27rocblas_rotm_kernel_batchedILi512EPdPKdEviT0_lllS3_lllT1_lli, .Lfunc_end2-_ZL27rocblas_rotm_kernel_batchedILi512EPdPKdEviT0_lllS3_lllT1_lli
                                        ; -- End function
	.set _ZL27rocblas_rotm_kernel_batchedILi512EPdPKdEviT0_lllS3_lllT1_lli.num_vgpr, 26
	.set _ZL27rocblas_rotm_kernel_batchedILi512EPdPKdEviT0_lllS3_lllT1_lli.num_agpr, 0
	.set _ZL27rocblas_rotm_kernel_batchedILi512EPdPKdEviT0_lllS3_lllT1_lli.numbered_sgpr, 32
	.set _ZL27rocblas_rotm_kernel_batchedILi512EPdPKdEviT0_lllS3_lllT1_lli.num_named_barrier, 0
	.set _ZL27rocblas_rotm_kernel_batchedILi512EPdPKdEviT0_lllS3_lllT1_lli.private_seg_size, 0
	.set _ZL27rocblas_rotm_kernel_batchedILi512EPdPKdEviT0_lllS3_lllT1_lli.uses_vcc, 1
	.set _ZL27rocblas_rotm_kernel_batchedILi512EPdPKdEviT0_lllS3_lllT1_lli.uses_flat_scratch, 0
	.set _ZL27rocblas_rotm_kernel_batchedILi512EPdPKdEviT0_lllS3_lllT1_lli.has_dyn_sized_stack, 0
	.set _ZL27rocblas_rotm_kernel_batchedILi512EPdPKdEviT0_lllS3_lllT1_lli.has_recursion, 0
	.set _ZL27rocblas_rotm_kernel_batchedILi512EPdPKdEviT0_lllS3_lllT1_lli.has_indirect_call, 0
	.section	.AMDGPU.csdata,"",@progbits
; Kernel info:
; codeLenInByte = 588
; TotalNumSgprs: 34
; NumVgprs: 26
; ScratchSize: 0
; MemoryBound: 1
; FloatMode: 240
; IeeeMode: 1
; LDSByteSize: 0 bytes/workgroup (compile time only)
; SGPRBlocks: 0
; VGPRBlocks: 1
; NumSGPRsForWavesPerEU: 34
; NumVGPRsForWavesPerEU: 26
; NamedBarCnt: 0
; Occupancy: 16
; WaveLimiterHint : 0
; COMPUTE_PGM_RSRC2:SCRATCH_EN: 0
; COMPUTE_PGM_RSRC2:USER_SGPR: 2
; COMPUTE_PGM_RSRC2:TRAP_HANDLER: 0
; COMPUTE_PGM_RSRC2:TGID_X_EN: 1
; COMPUTE_PGM_RSRC2:TGID_Y_EN: 0
; COMPUTE_PGM_RSRC2:TGID_Z_EN: 1
; COMPUTE_PGM_RSRC2:TIDIG_COMP_CNT: 0
	.section	.text._ZL27rocblas_rotm_kernel_regularILi512EddEviPT0_lllS1_lllT1_S2_S2_S2_S2_,"axG",@progbits,_ZL27rocblas_rotm_kernel_regularILi512EddEviPT0_lllS1_lllT1_S2_S2_S2_S2_,comdat
	.globl	_ZL27rocblas_rotm_kernel_regularILi512EddEviPT0_lllS1_lllT1_S2_S2_S2_S2_ ; -- Begin function _ZL27rocblas_rotm_kernel_regularILi512EddEviPT0_lllS1_lllT1_S2_S2_S2_S2_
	.p2align	8
	.type	_ZL27rocblas_rotm_kernel_regularILi512EddEviPT0_lllS1_lllT1_S2_S2_S2_S2_,@function
_ZL27rocblas_rotm_kernel_regularILi512EddEviPT0_lllS1_lllT1_S2_S2_S2_S2_: ; @_ZL27rocblas_rotm_kernel_regularILi512EddEviPT0_lllS1_lllT1_S2_S2_S2_S2_
; %bb.0:
	s_clause 0x2
	s_load_b256 s[4:11], s[0:1], 0x48
	s_load_b32 s2, s[0:1], 0x0
	s_load_b32 s12, s[0:1], 0x7c
	s_bfe_u32 s14, ttmp6, 0x4000c
	s_and_b32 s15, ttmp6, 15
	s_add_co_i32 s14, s14, 1
	s_getreg_b32 s16, hwreg(HW_REG_IB_STS2, 6, 4)
	s_mul_i32 s14, ttmp9, s14
	v_mov_b32_e32 v1, 0
	s_add_co_i32 s15, s15, s14
	s_wait_kmcnt 0x0
	v_cmp_neq_f64_e64 s13, s[4:5], -2.0
	s_ashr_i32 s3, s2, 31
	s_and_b32 s12, s12, 0xffff
	s_cmp_eq_u32 s16, 0
	s_cselect_b32 s14, ttmp9, s15
	s_delay_alu instid0(SALU_CYCLE_1) | instskip(NEXT) | instid1(VALU_DEP_1)
	v_mad_u32 v0, s14, s12, v0
	v_cmp_gt_i64_e32 vcc_lo, s[2:3], v[0:1]
	s_and_b32 s2, s13, vcc_lo
	s_delay_alu instid0(SALU_CYCLE_1)
	s_and_saveexec_b32 s3, s2
	s_cbranch_execz .LBB3_9
; %bb.1:
	s_clause 0x1
	s_load_b64 s[2:3], s[0:1], 0x18
	s_load_b64 s[12:13], s[0:1], 0x38
	s_wait_kmcnt 0x0
	v_mul_u64_e32 v[2:3], s[2:3], v[0:1]
	v_mul_u64_e32 v[0:1], s[12:13], v[0:1]
	s_clause 0x1
	s_load_b128 s[12:15], s[0:1], 0x8
	s_load_b128 s[16:19], s[0:1], 0x28
	s_wait_kmcnt 0x0
	s_lshl_b64 s[2:3], s[14:15], 3
	s_lshl_b64 s[14:15], s[18:19], 3
	s_add_nc_u64 s[2:3], s[12:13], s[2:3]
	s_add_nc_u64 s[12:13], s[16:17], s[14:15]
	s_load_b64 s[0:1], s[0:1], 0x68
	s_delay_alu instid0(VALU_DEP_2) | instskip(NEXT) | instid1(VALU_DEP_2)
	v_lshl_add_u64 v[2:3], v[2:3], 3, s[2:3]
	v_lshl_add_u64 v[0:1], v[0:1], 3, s[12:13]
	v_cmp_nlt_f64_e64 s2, s[4:5], 0
	global_load_b64 v[4:5], v[2:3], off
	global_load_b64 v[6:7], v[0:1], off
	s_and_b32 vcc_lo, exec_lo, s2
	s_cbranch_vccz .LBB3_6
; %bb.2:
	v_cmp_neq_f64_e64 s2, s[4:5], 0
	s_and_b32 vcc_lo, exec_lo, s2
	s_cbranch_vccz .LBB3_10
; %bb.3:
	s_wait_loadcnt 0x0
	v_fma_f64 v[10:11], s[6:7], v[4:5], v[6:7]
	s_wait_kmcnt 0x0
	v_fma_f64 v[8:9], s[0:1], v[6:7], -v[4:5]
	global_store_b64 v[2:3], v[10:11], off
	s_cbranch_execnz .LBB3_5
.LBB3_4:
	s_wait_loadcnt 0x0
	v_fma_f64 v[10:11], s[10:11], v[6:7], v[4:5]
	v_fma_f64 v[8:9], s[8:9], v[4:5], v[6:7]
	global_store_b64 v[2:3], v[10:11], off
.LBB3_5:
	s_cbranch_execz .LBB3_7
	s_branch .LBB3_8
.LBB3_6:
                                        ; implicit-def: $vgpr8_vgpr9
.LBB3_7:
	s_wait_loadcnt 0x0
	v_mul_f64_e32 v[10:11], s[10:11], v[6:7]
	s_wait_kmcnt 0x0
	v_mul_f64_e32 v[8:9], s[0:1], v[6:7]
	s_delay_alu instid0(VALU_DEP_2) | instskip(NEXT) | instid1(VALU_DEP_2)
	v_fmac_f64_e32 v[10:11], s[6:7], v[4:5]
	v_fmac_f64_e32 v[8:9], s[8:9], v[4:5]
	global_store_b64 v[2:3], v[10:11], off
.LBB3_8:
	global_store_b64 v[0:1], v[8:9], off
.LBB3_9:
	s_endpgm
.LBB3_10:
                                        ; implicit-def: $vgpr8_vgpr9
	s_branch .LBB3_4
	.section	.rodata,"a",@progbits
	.p2align	6, 0x0
	.amdhsa_kernel _ZL27rocblas_rotm_kernel_regularILi512EddEviPT0_lllS1_lllT1_S2_S2_S2_S2_
		.amdhsa_group_segment_fixed_size 0
		.amdhsa_private_segment_fixed_size 0
		.amdhsa_kernarg_size 368
		.amdhsa_user_sgpr_count 2
		.amdhsa_user_sgpr_dispatch_ptr 0
		.amdhsa_user_sgpr_queue_ptr 0
		.amdhsa_user_sgpr_kernarg_segment_ptr 1
		.amdhsa_user_sgpr_dispatch_id 0
		.amdhsa_user_sgpr_kernarg_preload_length 0
		.amdhsa_user_sgpr_kernarg_preload_offset 0
		.amdhsa_user_sgpr_private_segment_size 0
		.amdhsa_wavefront_size32 1
		.amdhsa_uses_dynamic_stack 0
		.amdhsa_enable_private_segment 0
		.amdhsa_system_sgpr_workgroup_id_x 1
		.amdhsa_system_sgpr_workgroup_id_y 0
		.amdhsa_system_sgpr_workgroup_id_z 0
		.amdhsa_system_sgpr_workgroup_info 0
		.amdhsa_system_vgpr_workitem_id 0
		.amdhsa_next_free_vgpr 12
		.amdhsa_next_free_sgpr 20
		.amdhsa_named_barrier_count 0
		.amdhsa_reserve_vcc 1
		.amdhsa_float_round_mode_32 0
		.amdhsa_float_round_mode_16_64 0
		.amdhsa_float_denorm_mode_32 3
		.amdhsa_float_denorm_mode_16_64 3
		.amdhsa_fp16_overflow 0
		.amdhsa_memory_ordered 1
		.amdhsa_forward_progress 1
		.amdhsa_inst_pref_size 4
		.amdhsa_round_robin_scheduling 0
		.amdhsa_exception_fp_ieee_invalid_op 0
		.amdhsa_exception_fp_denorm_src 0
		.amdhsa_exception_fp_ieee_div_zero 0
		.amdhsa_exception_fp_ieee_overflow 0
		.amdhsa_exception_fp_ieee_underflow 0
		.amdhsa_exception_fp_ieee_inexact 0
		.amdhsa_exception_int_div_zero 0
	.end_amdhsa_kernel
	.section	.text._ZL27rocblas_rotm_kernel_regularILi512EddEviPT0_lllS1_lllT1_S2_S2_S2_S2_,"axG",@progbits,_ZL27rocblas_rotm_kernel_regularILi512EddEviPT0_lllS1_lllT1_S2_S2_S2_S2_,comdat
.Lfunc_end3:
	.size	_ZL27rocblas_rotm_kernel_regularILi512EddEviPT0_lllS1_lllT1_S2_S2_S2_S2_, .Lfunc_end3-_ZL27rocblas_rotm_kernel_regularILi512EddEviPT0_lllS1_lllT1_S2_S2_S2_S2_
                                        ; -- End function
	.set _ZL27rocblas_rotm_kernel_regularILi512EddEviPT0_lllS1_lllT1_S2_S2_S2_S2_.num_vgpr, 12
	.set _ZL27rocblas_rotm_kernel_regularILi512EddEviPT0_lllS1_lllT1_S2_S2_S2_S2_.num_agpr, 0
	.set _ZL27rocblas_rotm_kernel_regularILi512EddEviPT0_lllS1_lllT1_S2_S2_S2_S2_.numbered_sgpr, 20
	.set _ZL27rocblas_rotm_kernel_regularILi512EddEviPT0_lllS1_lllT1_S2_S2_S2_S2_.num_named_barrier, 0
	.set _ZL27rocblas_rotm_kernel_regularILi512EddEviPT0_lllS1_lllT1_S2_S2_S2_S2_.private_seg_size, 0
	.set _ZL27rocblas_rotm_kernel_regularILi512EddEviPT0_lllS1_lllT1_S2_S2_S2_S2_.uses_vcc, 1
	.set _ZL27rocblas_rotm_kernel_regularILi512EddEviPT0_lllS1_lllT1_S2_S2_S2_S2_.uses_flat_scratch, 0
	.set _ZL27rocblas_rotm_kernel_regularILi512EddEviPT0_lllS1_lllT1_S2_S2_S2_S2_.has_dyn_sized_stack, 0
	.set _ZL27rocblas_rotm_kernel_regularILi512EddEviPT0_lllS1_lllT1_S2_S2_S2_S2_.has_recursion, 0
	.set _ZL27rocblas_rotm_kernel_regularILi512EddEviPT0_lllS1_lllT1_S2_S2_S2_S2_.has_indirect_call, 0
	.section	.AMDGPU.csdata,"",@progbits
; Kernel info:
; codeLenInByte = 420
; TotalNumSgprs: 22
; NumVgprs: 12
; ScratchSize: 0
; MemoryBound: 0
; FloatMode: 240
; IeeeMode: 1
; LDSByteSize: 0 bytes/workgroup (compile time only)
; SGPRBlocks: 0
; VGPRBlocks: 0
; NumSGPRsForWavesPerEU: 22
; NumVGPRsForWavesPerEU: 12
; NamedBarCnt: 0
; Occupancy: 16
; WaveLimiterHint : 1
; COMPUTE_PGM_RSRC2:SCRATCH_EN: 0
; COMPUTE_PGM_RSRC2:USER_SGPR: 2
; COMPUTE_PGM_RSRC2:TRAP_HANDLER: 0
; COMPUTE_PGM_RSRC2:TGID_X_EN: 1
; COMPUTE_PGM_RSRC2:TGID_Y_EN: 0
; COMPUTE_PGM_RSRC2:TGID_Z_EN: 0
; COMPUTE_PGM_RSRC2:TIDIG_COMP_CNT: 0
	.section	.text._ZL27rocblas_rotm_kernel_batchedILi512EPKPfPKPKfEviT0_lllS7_lllT1_lli,"axG",@progbits,_ZL27rocblas_rotm_kernel_batchedILi512EPKPfPKPKfEviT0_lllS7_lllT1_lli,comdat
	.globl	_ZL27rocblas_rotm_kernel_batchedILi512EPKPfPKPKfEviT0_lllS7_lllT1_lli ; -- Begin function _ZL27rocblas_rotm_kernel_batchedILi512EPKPfPKPKfEviT0_lllS7_lllT1_lli
	.p2align	8
	.type	_ZL27rocblas_rotm_kernel_batchedILi512EPKPfPKPKfEviT0_lllS7_lllT1_lli,@function
_ZL27rocblas_rotm_kernel_batchedILi512EPKPfPKPKfEviT0_lllS7_lllT1_lli: ; @_ZL27rocblas_rotm_kernel_batchedILi512EPKPfPKPKfEviT0_lllS7_lllT1_lli
; %bb.0:
	s_load_b32 s18, s[0:1], 0x60
	s_bfe_u32 s2, ttmp6, 0x40014
	s_lshr_b32 s3, ttmp7, 16
	s_add_co_i32 s2, s2, 1
	s_bfe_u32 s4, ttmp6, 0x40008
	s_mul_i32 s2, s3, s2
	s_getreg_b32 s8, hwreg(HW_REG_IB_STS2, 6, 4)
	s_add_co_i32 s4, s4, s2
	s_cmp_eq_u32 s8, 0
	s_cselect_b32 s2, s3, s4
	s_mov_b32 s3, 0
	s_wait_kmcnt 0x0
	s_cmp_ge_u32 s2, s18
	s_cbranch_scc1 .LBB4_13
; %bb.1:
	s_clause 0x2
	s_load_b32 s16, s[0:1], 0x0
	s_load_b32 s9, s[0:1], 0x74
	s_load_b128 s[4:7], s[0:1], 0x8
	s_bfe_u32 s10, ttmp6, 0x4000c
	s_clause 0x1
	s_load_b64 s[20:21], s[0:1], 0x18
	s_load_b64 s[22:23], s[0:1], 0x38
	s_add_co_i32 s10, s10, 1
	s_and_b32 s11, ttmp6, 15
	s_mul_i32 s10, ttmp9, s10
	v_mov_b32_e32 v5, 0
	s_add_co_i32 s11, s11, s10
	s_wait_kmcnt 0x0
	s_ashr_i32 s17, s16, 31
	s_and_b32 s9, s9, 0xffff
	s_cmp_eq_u32 s8, 0
	s_cselect_b32 s8, ttmp9, s11
	s_lshl_b64 s[6:7], s[6:7], 2
	v_mad_u32 v4, s8, s9, v0
	s_clause 0x1
	s_load_b128 s[8:11], s[0:1], 0x28
	s_load_b128 s[12:15], s[0:1], 0x48
	s_delay_alu instid0(VALU_DEP_1)
	v_mul_u64_e32 v[6:7], s[20:21], v[4:5]
	v_mul_u64_e32 v[8:9], s[22:23], v[4:5]
	v_cmp_gt_i64_e32 vcc_lo, s[16:17], v[4:5]
	s_wait_kmcnt 0x0
	s_lshl_b64 s[10:11], s[10:11], 2
	s_lshl_b64 s[14:15], s[14:15], 2
	s_branch .LBB4_4
.LBB4_2:                                ;   in Loop: Header=BB4_4 Depth=1
	s_wait_xcnt 0x0
	s_or_b32 exec_lo, exec_lo, s0
	s_wait_loadcnt_dscnt 0x0
	flat_store_b32 v[10:11], v13
.LBB4_3:                                ;   in Loop: Header=BB4_4 Depth=1
	s_wait_xcnt 0x0
	s_or_b32 exec_lo, exec_lo, s1
	s_add_co_i32 s2, s2, 0x10000
	s_delay_alu instid0(SALU_CYCLE_1)
	s_cmp_lt_u32 s2, s18
	s_cbranch_scc0 .LBB4_13
.LBB4_4:                                ; =>This Inner Loop Header: Depth=1
	s_load_b64 s[0:1], s[12:13], s2 offset:0x0 scale_offset
	s_wait_kmcnt 0x0
	s_add_nc_u64 s[16:17], s[0:1], s[14:15]
	flat_load_b128 v[0:3], v5, s[16:17]
	s_wait_loadcnt_dscnt 0x0
	v_cmp_neq_f32_e64 s0, -2.0, v0
	s_and_b32 s0, s0, vcc_lo
	s_wait_xcnt 0x0
	s_and_saveexec_b32 s1, s0
	s_cbranch_execz .LBB4_3
; %bb.5:                                ;   in Loop: Header=BB4_4 Depth=1
	s_lshl_b64 s[20:21], s[2:3], 3
	s_delay_alu instid0(SALU_CYCLE_1)
	s_add_nc_u64 s[22:23], s[4:5], s[20:21]
	s_add_nc_u64 s[20:21], s[8:9], s[20:21]
	s_load_b64 s[24:25], s[22:23], 0x0
	s_load_b64 s[26:27], s[20:21], 0x0
	s_wait_kmcnt 0x0
	s_wait_xcnt 0x0
	s_add_nc_u64 s[20:21], s[24:25], s[6:7]
	s_add_nc_u64 s[22:23], s[26:27], s[10:11]
	v_lshl_add_u64 v[14:15], v[6:7], 2, s[20:21]
	v_lshl_add_u64 v[10:11], v[8:9], 2, s[22:23]
	flat_load_b32 v4, v5, s[16:17] offset:16
	flat_load_b32 v12, v[14:15]
	flat_load_b32 v13, v[10:11]
	s_wait_xcnt 0x2
	s_mov_b32 s16, exec_lo
	s_wait_xcnt 0x0
	v_cmpx_ngt_f32_e32 0, v0
	s_xor_b32 s16, exec_lo, s16
	s_cbranch_execz .LBB4_11
; %bb.6:                                ;   in Loop: Header=BB4_4 Depth=1
	v_cmp_neq_f32_e64 s0, 0, v0
	s_and_saveexec_b32 s17, s0
	s_delay_alu instid0(SALU_CYCLE_1)
	s_xor_b32 s0, exec_lo, s17
	s_cbranch_execz .LBB4_8
; %bb.7:                                ;   in Loop: Header=BB4_4 Depth=1
	s_wait_loadcnt_dscnt 0x0
	v_dual_fma_f32 v0, v1, v12, v13 :: v_dual_fma_f32 v13, v4, v13, -v12
	flat_store_b32 v[14:15], v0
                                        ; implicit-def: $vgpr0_vgpr1_vgpr2_vgpr3
                                        ; implicit-def: $vgpr14_vgpr15
.LBB4_8:                                ;   in Loop: Header=BB4_4 Depth=1
	s_wait_xcnt 0x0
	s_and_not1_saveexec_b32 s0, s0
	s_cbranch_execz .LBB4_10
; %bb.9:                                ;   in Loop: Header=BB4_4 Depth=1
	s_wait_loadcnt_dscnt 0x0
	v_dual_fma_f32 v0, v3, v13, v12 :: v_dual_fmac_f32 v13, v2, v12
	flat_store_b32 v[14:15], v0
.LBB4_10:                               ;   in Loop: Header=BB4_4 Depth=1
	s_wait_xcnt 0x0
	s_or_b32 exec_lo, exec_lo, s0
                                        ; implicit-def: $vgpr1
                                        ; implicit-def: $vgpr14_vgpr15
                                        ; implicit-def: $vgpr4
.LBB4_11:                               ;   in Loop: Header=BB4_4 Depth=1
	s_and_not1_saveexec_b32 s0, s16
	s_cbranch_execz .LBB4_2
; %bb.12:                               ;   in Loop: Header=BB4_4 Depth=1
	v_dual_mov_b32 v0, v1 :: v_dual_mov_b32 v1, v3
	s_wait_loadcnt_dscnt 0x202
	v_mov_b32_e32 v3, v4
	s_wait_loadcnt_dscnt 0x0
	s_delay_alu instid0(VALU_DEP_2) | instskip(NEXT) | instid1(VALU_DEP_2)
	v_pk_mul_f32 v[0:1], v[0:1], v[12:13]
	v_pk_mul_f32 v[2:3], v[2:3], v[12:13]
	s_delay_alu instid0(VALU_DEP_1)
	v_dual_add_f32 v0, v0, v1 :: v_dual_add_f32 v13, v2, v3
	flat_store_b32 v[14:15], v0
	s_branch .LBB4_2
.LBB4_13:
	s_endpgm
	.section	.rodata,"a",@progbits
	.p2align	6, 0x0
	.amdhsa_kernel _ZL27rocblas_rotm_kernel_batchedILi512EPKPfPKPKfEviT0_lllS7_lllT1_lli
		.amdhsa_group_segment_fixed_size 0
		.amdhsa_private_segment_fixed_size 0
		.amdhsa_kernarg_size 360
		.amdhsa_user_sgpr_count 2
		.amdhsa_user_sgpr_dispatch_ptr 0
		.amdhsa_user_sgpr_queue_ptr 0
		.amdhsa_user_sgpr_kernarg_segment_ptr 1
		.amdhsa_user_sgpr_dispatch_id 0
		.amdhsa_user_sgpr_kernarg_preload_length 0
		.amdhsa_user_sgpr_kernarg_preload_offset 0
		.amdhsa_user_sgpr_private_segment_size 0
		.amdhsa_wavefront_size32 1
		.amdhsa_uses_dynamic_stack 0
		.amdhsa_enable_private_segment 0
		.amdhsa_system_sgpr_workgroup_id_x 1
		.amdhsa_system_sgpr_workgroup_id_y 0
		.amdhsa_system_sgpr_workgroup_id_z 1
		.amdhsa_system_sgpr_workgroup_info 0
		.amdhsa_system_vgpr_workitem_id 0
		.amdhsa_next_free_vgpr 16
		.amdhsa_next_free_sgpr 28
		.amdhsa_named_barrier_count 0
		.amdhsa_reserve_vcc 1
		.amdhsa_float_round_mode_32 0
		.amdhsa_float_round_mode_16_64 0
		.amdhsa_float_denorm_mode_32 3
		.amdhsa_float_denorm_mode_16_64 3
		.amdhsa_fp16_overflow 0
		.amdhsa_memory_ordered 1
		.amdhsa_forward_progress 1
		.amdhsa_inst_pref_size 6
		.amdhsa_round_robin_scheduling 0
		.amdhsa_exception_fp_ieee_invalid_op 0
		.amdhsa_exception_fp_denorm_src 0
		.amdhsa_exception_fp_ieee_div_zero 0
		.amdhsa_exception_fp_ieee_overflow 0
		.amdhsa_exception_fp_ieee_underflow 0
		.amdhsa_exception_fp_ieee_inexact 0
		.amdhsa_exception_int_div_zero 0
	.end_amdhsa_kernel
	.section	.text._ZL27rocblas_rotm_kernel_batchedILi512EPKPfPKPKfEviT0_lllS7_lllT1_lli,"axG",@progbits,_ZL27rocblas_rotm_kernel_batchedILi512EPKPfPKPKfEviT0_lllS7_lllT1_lli,comdat
.Lfunc_end4:
	.size	_ZL27rocblas_rotm_kernel_batchedILi512EPKPfPKPKfEviT0_lllS7_lllT1_lli, .Lfunc_end4-_ZL27rocblas_rotm_kernel_batchedILi512EPKPfPKPKfEviT0_lllS7_lllT1_lli
                                        ; -- End function
	.set _ZL27rocblas_rotm_kernel_batchedILi512EPKPfPKPKfEviT0_lllS7_lllT1_lli.num_vgpr, 16
	.set _ZL27rocblas_rotm_kernel_batchedILi512EPKPfPKPKfEviT0_lllS7_lllT1_lli.num_agpr, 0
	.set _ZL27rocblas_rotm_kernel_batchedILi512EPKPfPKPKfEviT0_lllS7_lllT1_lli.numbered_sgpr, 28
	.set _ZL27rocblas_rotm_kernel_batchedILi512EPKPfPKPKfEviT0_lllS7_lllT1_lli.num_named_barrier, 0
	.set _ZL27rocblas_rotm_kernel_batchedILi512EPKPfPKPKfEviT0_lllS7_lllT1_lli.private_seg_size, 0
	.set _ZL27rocblas_rotm_kernel_batchedILi512EPKPfPKPKfEviT0_lllS7_lllT1_lli.uses_vcc, 1
	.set _ZL27rocblas_rotm_kernel_batchedILi512EPKPfPKPKfEviT0_lllS7_lllT1_lli.uses_flat_scratch, 0
	.set _ZL27rocblas_rotm_kernel_batchedILi512EPKPfPKPKfEviT0_lllS7_lllT1_lli.has_dyn_sized_stack, 0
	.set _ZL27rocblas_rotm_kernel_batchedILi512EPKPfPKPKfEviT0_lllS7_lllT1_lli.has_recursion, 0
	.set _ZL27rocblas_rotm_kernel_batchedILi512EPKPfPKPKfEviT0_lllS7_lllT1_lli.has_indirect_call, 0
	.section	.AMDGPU.csdata,"",@progbits
; Kernel info:
; codeLenInByte = 644
; TotalNumSgprs: 30
; NumVgprs: 16
; ScratchSize: 0
; MemoryBound: 0
; FloatMode: 240
; IeeeMode: 1
; LDSByteSize: 0 bytes/workgroup (compile time only)
; SGPRBlocks: 0
; VGPRBlocks: 0
; NumSGPRsForWavesPerEU: 30
; NumVGPRsForWavesPerEU: 16
; NamedBarCnt: 0
; Occupancy: 16
; WaveLimiterHint : 1
; COMPUTE_PGM_RSRC2:SCRATCH_EN: 0
; COMPUTE_PGM_RSRC2:USER_SGPR: 2
; COMPUTE_PGM_RSRC2:TRAP_HANDLER: 0
; COMPUTE_PGM_RSRC2:TGID_X_EN: 1
; COMPUTE_PGM_RSRC2:TGID_Y_EN: 0
; COMPUTE_PGM_RSRC2:TGID_Z_EN: 1
; COMPUTE_PGM_RSRC2:TIDIG_COMP_CNT: 0
	.section	.text._ZL27rocblas_rotm_kernel_regularILi512EKPfPKfEviPT0_lllS5_lllT1_S6_S6_S6_S6_,"axG",@progbits,_ZL27rocblas_rotm_kernel_regularILi512EKPfPKfEviPT0_lllS5_lllT1_S6_S6_S6_S6_,comdat
	.globl	_ZL27rocblas_rotm_kernel_regularILi512EKPfPKfEviPT0_lllS5_lllT1_S6_S6_S6_S6_ ; -- Begin function _ZL27rocblas_rotm_kernel_regularILi512EKPfPKfEviPT0_lllS5_lllT1_S6_S6_S6_S6_
	.p2align	8
	.type	_ZL27rocblas_rotm_kernel_regularILi512EKPfPKfEviPT0_lllS5_lllT1_S6_S6_S6_S6_,@function
_ZL27rocblas_rotm_kernel_regularILi512EKPfPKfEviPT0_lllS5_lllT1_S6_S6_S6_S6_: ; @_ZL27rocblas_rotm_kernel_regularILi512EKPfPKfEviPT0_lllS5_lllT1_S6_S6_S6_S6_
; %bb.0:
	s_clause 0x2
	s_load_b32 s12, s[0:1], 0x0
	s_load_b256 s[4:11], s[0:1], 0x48
	s_load_b32 s3, s[0:1], 0x7c
	s_bfe_u32 s2, ttmp6, 0x4000c
	v_mov_b32_e32 v1, 0
	s_add_co_i32 s14, s2, 1
	s_wait_kmcnt 0x0
	s_ashr_i32 s13, s12, 31
	s_load_b32 s2, s[4:5], 0x0
	s_wait_xcnt 0x0
	s_and_b32 s4, ttmp6, 15
	s_mul_i32 s5, ttmp9, s14
	s_getreg_b32 s14, hwreg(HW_REG_IB_STS2, 6, 4)
	s_and_b32 s3, s3, 0xffff
	s_add_co_i32 s4, s4, s5
	s_cmp_eq_u32 s14, 0
	s_cselect_b32 s4, ttmp9, s4
	s_delay_alu instid0(SALU_CYCLE_1) | instskip(SKIP_2) | instid1(VALU_DEP_1)
	v_mad_u32 v0, s4, s3, v0
	s_wait_kmcnt 0x0
	s_cmp_neq_f32 s2, -2.0
	v_cmp_gt_i64_e32 vcc_lo, s[12:13], v[0:1]
	s_cselect_b32 s3, -1, 0
	s_delay_alu instid0(SALU_CYCLE_1) | instskip(NEXT) | instid1(SALU_CYCLE_1)
	s_and_b32 s3, s3, vcc_lo
	s_and_saveexec_b32 s4, s3
	s_cbranch_execz .LBB5_9
; %bb.1:
	s_clause 0x3
	s_load_b64 s[4:5], s[0:1], 0x18
	s_load_b64 s[20:21], s[0:1], 0x38
	s_load_b128 s[12:15], s[0:1], 0x8
	s_load_b128 s[16:19], s[0:1], 0x28
	s_wait_kmcnt 0x0
	v_mul_u64_e32 v[2:3], s[4:5], v[0:1]
	v_mul_u64_e32 v[0:1], s[20:21], v[0:1]
	s_load_b64 s[4:5], s[12:13], 0x0
	s_load_b64 s[20:21], s[16:17], 0x0
	s_wait_xcnt 0x0
	s_lshl_b64 s[12:13], s[14:15], 2
	s_lshl_b64 s[14:15], s[18:19], 2
	s_cmp_nlt_f32 s2, 0
	s_wait_kmcnt 0x0
	s_add_nc_u64 s[4:5], s[4:5], s[12:13]
	s_add_nc_u64 s[12:13], s[20:21], s[14:15]
	s_delay_alu instid0(VALU_DEP_2) | instskip(NEXT) | instid1(VALU_DEP_2)
	v_lshl_add_u64 v[2:3], v[2:3], 2, s[4:5]
	v_lshl_add_u64 v[0:1], v[0:1], 2, s[12:13]
	flat_load_b32 v4, v[2:3]
	flat_load_b32 v5, v[0:1]
	s_load_b64 s[12:13], s[0:1], 0x68
	s_load_b32 s4, s[6:7], 0x0
	s_load_b32 s3, s[8:9], 0x0
	;; [unrolled: 1-line block ×3, first 2 shown]
	s_wait_kmcnt 0x0
	s_load_b32 s0, s[12:13], 0x0
	s_cbranch_scc0 .LBB5_6
; %bb.2:
	s_cmp_neq_f32 s2, 0
	s_mov_b32 s1, 0
	s_cbranch_scc0 .LBB5_10
; %bb.3:
	s_wait_loadcnt_dscnt 0x0
	s_wait_kmcnt 0x0
	v_dual_fma_f32 v7, s4, v4, v5 :: v_dual_fma_f32 v6, s0, v5, -v4
	flat_store_b32 v[2:3], v7
	s_and_not1_b32 vcc_lo, exec_lo, s1
	s_cbranch_vccnz .LBB5_5
.LBB5_4:
	s_wait_loadcnt_dscnt 0x0
	v_dual_fma_f32 v7, s5, v5, v4 :: v_dual_fma_f32 v6, s3, v4, v5
	flat_store_b32 v[2:3], v7
.LBB5_5:
	s_cbranch_execz .LBB5_7
	s_branch .LBB5_8
.LBB5_6:
                                        ; implicit-def: $vgpr6
.LBB5_7:
	s_wait_xcnt 0x0
	v_dual_mov_b32 v6, s4 :: v_dual_mov_b32 v7, s5
	s_wait_kmcnt 0x0
	v_dual_mov_b32 v8, s3 :: v_dual_mov_b32 v9, s0
	s_wait_loadcnt_dscnt 0x0
	s_delay_alu instid0(VALU_DEP_2) | instskip(NEXT) | instid1(VALU_DEP_2)
	v_pk_mul_f32 v[6:7], v[6:7], v[4:5]
	v_pk_mul_f32 v[4:5], v[8:9], v[4:5]
	s_delay_alu instid0(VALU_DEP_1)
	v_dual_add_f32 v7, v6, v7 :: v_dual_add_f32 v6, v4, v5
	flat_store_b32 v[2:3], v7
.LBB5_8:
	flat_store_b32 v[0:1], v6
.LBB5_9:
	s_endpgm
.LBB5_10:
                                        ; implicit-def: $vgpr6
	s_branch .LBB5_4
	.section	.rodata,"a",@progbits
	.p2align	6, 0x0
	.amdhsa_kernel _ZL27rocblas_rotm_kernel_regularILi512EKPfPKfEviPT0_lllS5_lllT1_S6_S6_S6_S6_
		.amdhsa_group_segment_fixed_size 0
		.amdhsa_private_segment_fixed_size 0
		.amdhsa_kernarg_size 368
		.amdhsa_user_sgpr_count 2
		.amdhsa_user_sgpr_dispatch_ptr 0
		.amdhsa_user_sgpr_queue_ptr 0
		.amdhsa_user_sgpr_kernarg_segment_ptr 1
		.amdhsa_user_sgpr_dispatch_id 0
		.amdhsa_user_sgpr_kernarg_preload_length 0
		.amdhsa_user_sgpr_kernarg_preload_offset 0
		.amdhsa_user_sgpr_private_segment_size 0
		.amdhsa_wavefront_size32 1
		.amdhsa_uses_dynamic_stack 0
		.amdhsa_enable_private_segment 0
		.amdhsa_system_sgpr_workgroup_id_x 1
		.amdhsa_system_sgpr_workgroup_id_y 0
		.amdhsa_system_sgpr_workgroup_id_z 0
		.amdhsa_system_sgpr_workgroup_info 0
		.amdhsa_system_vgpr_workitem_id 0
		.amdhsa_next_free_vgpr 10
		.amdhsa_next_free_sgpr 22
		.amdhsa_named_barrier_count 0
		.amdhsa_reserve_vcc 1
		.amdhsa_float_round_mode_32 0
		.amdhsa_float_round_mode_16_64 0
		.amdhsa_float_denorm_mode_32 3
		.amdhsa_float_denorm_mode_16_64 3
		.amdhsa_fp16_overflow 0
		.amdhsa_memory_ordered 1
		.amdhsa_forward_progress 1
		.amdhsa_inst_pref_size 4
		.amdhsa_round_robin_scheduling 0
		.amdhsa_exception_fp_ieee_invalid_op 0
		.amdhsa_exception_fp_denorm_src 0
		.amdhsa_exception_fp_ieee_div_zero 0
		.amdhsa_exception_fp_ieee_overflow 0
		.amdhsa_exception_fp_ieee_underflow 0
		.amdhsa_exception_fp_ieee_inexact 0
		.amdhsa_exception_int_div_zero 0
	.end_amdhsa_kernel
	.section	.text._ZL27rocblas_rotm_kernel_regularILi512EKPfPKfEviPT0_lllS5_lllT1_S6_S6_S6_S6_,"axG",@progbits,_ZL27rocblas_rotm_kernel_regularILi512EKPfPKfEviPT0_lllS5_lllT1_S6_S6_S6_S6_,comdat
.Lfunc_end5:
	.size	_ZL27rocblas_rotm_kernel_regularILi512EKPfPKfEviPT0_lllS5_lllT1_S6_S6_S6_S6_, .Lfunc_end5-_ZL27rocblas_rotm_kernel_regularILi512EKPfPKfEviPT0_lllS5_lllT1_S6_S6_S6_S6_
                                        ; -- End function
	.set _ZL27rocblas_rotm_kernel_regularILi512EKPfPKfEviPT0_lllS5_lllT1_S6_S6_S6_S6_.num_vgpr, 10
	.set _ZL27rocblas_rotm_kernel_regularILi512EKPfPKfEviPT0_lllS5_lllT1_S6_S6_S6_S6_.num_agpr, 0
	.set _ZL27rocblas_rotm_kernel_regularILi512EKPfPKfEviPT0_lllS5_lllT1_S6_S6_S6_S6_.numbered_sgpr, 22
	.set _ZL27rocblas_rotm_kernel_regularILi512EKPfPKfEviPT0_lllS5_lllT1_S6_S6_S6_S6_.num_named_barrier, 0
	.set _ZL27rocblas_rotm_kernel_regularILi512EKPfPKfEviPT0_lllS5_lllT1_S6_S6_S6_S6_.private_seg_size, 0
	.set _ZL27rocblas_rotm_kernel_regularILi512EKPfPKfEviPT0_lllS5_lllT1_S6_S6_S6_S6_.uses_vcc, 1
	.set _ZL27rocblas_rotm_kernel_regularILi512EKPfPKfEviPT0_lllS5_lllT1_S6_S6_S6_S6_.uses_flat_scratch, 0
	.set _ZL27rocblas_rotm_kernel_regularILi512EKPfPKfEviPT0_lllS5_lllT1_S6_S6_S6_S6_.has_dyn_sized_stack, 0
	.set _ZL27rocblas_rotm_kernel_regularILi512EKPfPKfEviPT0_lllS5_lllT1_S6_S6_S6_S6_.has_recursion, 0
	.set _ZL27rocblas_rotm_kernel_regularILi512EKPfPKfEviPT0_lllS5_lllT1_S6_S6_S6_S6_.has_indirect_call, 0
	.section	.AMDGPU.csdata,"",@progbits
; Kernel info:
; codeLenInByte = 504
; TotalNumSgprs: 24
; NumVgprs: 10
; ScratchSize: 0
; MemoryBound: 0
; FloatMode: 240
; IeeeMode: 1
; LDSByteSize: 0 bytes/workgroup (compile time only)
; SGPRBlocks: 0
; VGPRBlocks: 0
; NumSGPRsForWavesPerEU: 24
; NumVGPRsForWavesPerEU: 10
; NamedBarCnt: 0
; Occupancy: 16
; WaveLimiterHint : 1
; COMPUTE_PGM_RSRC2:SCRATCH_EN: 0
; COMPUTE_PGM_RSRC2:USER_SGPR: 2
; COMPUTE_PGM_RSRC2:TRAP_HANDLER: 0
; COMPUTE_PGM_RSRC2:TGID_X_EN: 1
; COMPUTE_PGM_RSRC2:TGID_Y_EN: 0
; COMPUTE_PGM_RSRC2:TGID_Z_EN: 0
; COMPUTE_PGM_RSRC2:TIDIG_COMP_CNT: 0
	.section	.text._ZL27rocblas_rotm_kernel_batchedILi512EPKPdPKPKdEviT0_lllS7_lllT1_lli,"axG",@progbits,_ZL27rocblas_rotm_kernel_batchedILi512EPKPdPKPKdEviT0_lllS7_lllT1_lli,comdat
	.globl	_ZL27rocblas_rotm_kernel_batchedILi512EPKPdPKPKdEviT0_lllS7_lllT1_lli ; -- Begin function _ZL27rocblas_rotm_kernel_batchedILi512EPKPdPKPKdEviT0_lllS7_lllT1_lli
	.p2align	8
	.type	_ZL27rocblas_rotm_kernel_batchedILi512EPKPdPKPKdEviT0_lllS7_lllT1_lli,@function
_ZL27rocblas_rotm_kernel_batchedILi512EPKPdPKPKdEviT0_lllS7_lllT1_lli: ; @_ZL27rocblas_rotm_kernel_batchedILi512EPKPdPKPKdEviT0_lllS7_lllT1_lli
; %bb.0:
	s_load_b32 s18, s[0:1], 0x60
	s_bfe_u32 s2, ttmp6, 0x40014
	s_lshr_b32 s3, ttmp7, 16
	s_add_co_i32 s2, s2, 1
	s_bfe_u32 s4, ttmp6, 0x40008
	s_mul_i32 s2, s3, s2
	s_getreg_b32 s8, hwreg(HW_REG_IB_STS2, 6, 4)
	s_add_co_i32 s4, s4, s2
	s_cmp_eq_u32 s8, 0
	s_cselect_b32 s2, s3, s4
	s_mov_b32 s3, 0
	s_wait_kmcnt 0x0
	s_cmp_ge_u32 s2, s18
	s_cbranch_scc1 .LBB6_13
; %bb.1:
	s_clause 0x2
	s_load_b32 s16, s[0:1], 0x0
	s_load_b32 s9, s[0:1], 0x74
	s_load_b128 s[4:7], s[0:1], 0x8
	s_bfe_u32 s10, ttmp6, 0x4000c
	s_clause 0x1
	s_load_b64 s[20:21], s[0:1], 0x18
	s_load_b64 s[22:23], s[0:1], 0x38
	s_add_co_i32 s10, s10, 1
	s_and_b32 s11, ttmp6, 15
	s_mul_i32 s10, ttmp9, s10
	v_mov_b32_e32 v9, 0
	s_add_co_i32 s11, s11, s10
	s_wait_kmcnt 0x0
	s_ashr_i32 s17, s16, 31
	s_and_b32 s9, s9, 0xffff
	s_cmp_eq_u32 s8, 0
	s_cselect_b32 s8, ttmp9, s11
	s_lshl_b64 s[6:7], s[6:7], 3
	v_mad_u32 v8, s8, s9, v0
	s_clause 0x1
	s_load_b128 s[8:11], s[0:1], 0x28
	s_load_b128 s[12:15], s[0:1], 0x48
	s_delay_alu instid0(VALU_DEP_1)
	v_mul_u64_e32 v[10:11], s[20:21], v[8:9]
	v_mul_u64_e32 v[12:13], s[22:23], v[8:9]
	v_cmp_gt_i64_e32 vcc_lo, s[16:17], v[8:9]
	s_wait_kmcnt 0x0
	s_lshl_b64 s[10:11], s[10:11], 3
	s_lshl_b64 s[14:15], s[14:15], 3
	s_branch .LBB6_4
.LBB6_2:                                ;   in Loop: Header=BB6_4 Depth=1
	s_wait_xcnt 0x0
	s_or_b32 exec_lo, exec_lo, s0
	s_wait_loadcnt_dscnt 0x0
	flat_store_b64 v[14:15], v[16:17]
.LBB6_3:                                ;   in Loop: Header=BB6_4 Depth=1
	s_wait_xcnt 0x0
	s_or_b32 exec_lo, exec_lo, s1
	s_add_co_i32 s2, s2, 0x10000
	s_delay_alu instid0(SALU_CYCLE_1)
	s_cmp_lt_u32 s2, s18
	s_cbranch_scc0 .LBB6_13
.LBB6_4:                                ; =>This Inner Loop Header: Depth=1
	s_load_b64 s[0:1], s[12:13], s2 offset:0x0 scale_offset
	s_wait_kmcnt 0x0
	s_add_nc_u64 s[16:17], s[0:1], s[14:15]
	flat_load_b128 v[0:3], v9, s[16:17]
	s_wait_loadcnt_dscnt 0x0
	v_cmp_neq_f64_e64 s0, -2.0, v[0:1]
	s_and_b32 s0, s0, vcc_lo
	s_wait_xcnt 0x0
	s_and_saveexec_b32 s1, s0
	s_cbranch_execz .LBB6_3
; %bb.5:                                ;   in Loop: Header=BB6_4 Depth=1
	s_lshl_b64 s[20:21], s[2:3], 3
	s_delay_alu instid0(SALU_CYCLE_1)
	s_add_nc_u64 s[22:23], s[4:5], s[20:21]
	s_add_nc_u64 s[20:21], s[8:9], s[20:21]
	s_load_b64 s[24:25], s[22:23], 0x0
	s_load_b64 s[26:27], s[20:21], 0x0
	s_wait_kmcnt 0x0
	s_wait_xcnt 0x0
	s_add_nc_u64 s[20:21], s[24:25], s[6:7]
	s_add_nc_u64 s[22:23], s[26:27], s[10:11]
	v_lshl_add_u64 v[18:19], v[10:11], 3, s[20:21]
	v_lshl_add_u64 v[14:15], v[12:13], 3, s[22:23]
	s_clause 0x1
	flat_load_b128 v[4:7], v9, s[16:17] offset:16
	flat_load_b64 v[22:23], v9, s[16:17] offset:32
	flat_load_b64 v[20:21], v[18:19]
	flat_load_b64 v[16:17], v[14:15]
	s_wait_xcnt 0x2
	s_mov_b32 s16, exec_lo
	s_wait_xcnt 0x0
	v_cmpx_ngt_f64_e32 0, v[0:1]
	s_xor_b32 s16, exec_lo, s16
	s_cbranch_execz .LBB6_11
; %bb.6:                                ;   in Loop: Header=BB6_4 Depth=1
	v_cmp_neq_f64_e64 s0, 0, v[0:1]
	s_and_saveexec_b32 s17, s0
	s_delay_alu instid0(SALU_CYCLE_1)
	s_xor_b32 s0, exec_lo, s17
	s_cbranch_execz .LBB6_8
; %bb.7:                                ;   in Loop: Header=BB6_4 Depth=1
	s_wait_loadcnt_dscnt 0x0
	v_fma_f64 v[0:1], v[2:3], v[20:21], v[16:17]
	v_fma_f64 v[16:17], v[22:23], v[16:17], -v[20:21]
                                        ; implicit-def: $vgpr6_vgpr7
                                        ; implicit-def: $vgpr20_vgpr21
	flat_store_b64 v[18:19], v[0:1]
                                        ; implicit-def: $vgpr18_vgpr19
.LBB6_8:                                ;   in Loop: Header=BB6_4 Depth=1
	s_wait_xcnt 0x0
	s_and_not1_saveexec_b32 s0, s0
	s_cbranch_execz .LBB6_10
; %bb.9:                                ;   in Loop: Header=BB6_4 Depth=1
	s_wait_loadcnt_dscnt 0x0
	v_fma_f64 v[0:1], v[6:7], v[16:17], v[20:21]
	v_fmac_f64_e32 v[16:17], v[4:5], v[20:21]
	flat_store_b64 v[18:19], v[0:1]
.LBB6_10:                               ;   in Loop: Header=BB6_4 Depth=1
	s_wait_xcnt 0x0
	s_or_b32 exec_lo, exec_lo, s0
                                        ; implicit-def: $vgpr6_vgpr7
                                        ; implicit-def: $vgpr2_vgpr3
                                        ; implicit-def: $vgpr20_vgpr21
                                        ; implicit-def: $vgpr18_vgpr19
                                        ; implicit-def: $vgpr22_vgpr23
.LBB6_11:                               ;   in Loop: Header=BB6_4 Depth=1
	s_and_not1_saveexec_b32 s0, s16
	s_cbranch_execz .LBB6_2
; %bb.12:                               ;   in Loop: Header=BB6_4 Depth=1
	s_wait_loadcnt_dscnt 0x0
	v_mul_f64_e32 v[0:1], v[6:7], v[16:17]
	v_mul_f64_e32 v[16:17], v[22:23], v[16:17]
	s_delay_alu instid0(VALU_DEP_2) | instskip(NEXT) | instid1(VALU_DEP_2)
	v_fmac_f64_e32 v[0:1], v[2:3], v[20:21]
	v_fmac_f64_e32 v[16:17], v[4:5], v[20:21]
	flat_store_b64 v[18:19], v[0:1]
	s_branch .LBB6_2
.LBB6_13:
	s_endpgm
	.section	.rodata,"a",@progbits
	.p2align	6, 0x0
	.amdhsa_kernel _ZL27rocblas_rotm_kernel_batchedILi512EPKPdPKPKdEviT0_lllS7_lllT1_lli
		.amdhsa_group_segment_fixed_size 0
		.amdhsa_private_segment_fixed_size 0
		.amdhsa_kernarg_size 360
		.amdhsa_user_sgpr_count 2
		.amdhsa_user_sgpr_dispatch_ptr 0
		.amdhsa_user_sgpr_queue_ptr 0
		.amdhsa_user_sgpr_kernarg_segment_ptr 1
		.amdhsa_user_sgpr_dispatch_id 0
		.amdhsa_user_sgpr_kernarg_preload_length 0
		.amdhsa_user_sgpr_kernarg_preload_offset 0
		.amdhsa_user_sgpr_private_segment_size 0
		.amdhsa_wavefront_size32 1
		.amdhsa_uses_dynamic_stack 0
		.amdhsa_enable_private_segment 0
		.amdhsa_system_sgpr_workgroup_id_x 1
		.amdhsa_system_sgpr_workgroup_id_y 0
		.amdhsa_system_sgpr_workgroup_id_z 1
		.amdhsa_system_sgpr_workgroup_info 0
		.amdhsa_system_vgpr_workitem_id 0
		.amdhsa_next_free_vgpr 24
		.amdhsa_next_free_sgpr 28
		.amdhsa_named_barrier_count 0
		.amdhsa_reserve_vcc 1
		.amdhsa_float_round_mode_32 0
		.amdhsa_float_round_mode_16_64 0
		.amdhsa_float_denorm_mode_32 3
		.amdhsa_float_denorm_mode_16_64 3
		.amdhsa_fp16_overflow 0
		.amdhsa_memory_ordered 1
		.amdhsa_forward_progress 1
		.amdhsa_inst_pref_size 5
		.amdhsa_round_robin_scheduling 0
		.amdhsa_exception_fp_ieee_invalid_op 0
		.amdhsa_exception_fp_denorm_src 0
		.amdhsa_exception_fp_ieee_div_zero 0
		.amdhsa_exception_fp_ieee_overflow 0
		.amdhsa_exception_fp_ieee_underflow 0
		.amdhsa_exception_fp_ieee_inexact 0
		.amdhsa_exception_int_div_zero 0
	.end_amdhsa_kernel
	.section	.text._ZL27rocblas_rotm_kernel_batchedILi512EPKPdPKPKdEviT0_lllS7_lllT1_lli,"axG",@progbits,_ZL27rocblas_rotm_kernel_batchedILi512EPKPdPKPKdEviT0_lllS7_lllT1_lli,comdat
.Lfunc_end6:
	.size	_ZL27rocblas_rotm_kernel_batchedILi512EPKPdPKPKdEviT0_lllS7_lllT1_lli, .Lfunc_end6-_ZL27rocblas_rotm_kernel_batchedILi512EPKPdPKPKdEviT0_lllS7_lllT1_lli
                                        ; -- End function
	.set _ZL27rocblas_rotm_kernel_batchedILi512EPKPdPKPKdEviT0_lllS7_lllT1_lli.num_vgpr, 24
	.set _ZL27rocblas_rotm_kernel_batchedILi512EPKPdPKPKdEviT0_lllS7_lllT1_lli.num_agpr, 0
	.set _ZL27rocblas_rotm_kernel_batchedILi512EPKPdPKPKdEviT0_lllS7_lllT1_lli.numbered_sgpr, 28
	.set _ZL27rocblas_rotm_kernel_batchedILi512EPKPdPKPKdEviT0_lllS7_lllT1_lli.num_named_barrier, 0
	.set _ZL27rocblas_rotm_kernel_batchedILi512EPKPdPKPKdEviT0_lllS7_lllT1_lli.private_seg_size, 0
	.set _ZL27rocblas_rotm_kernel_batchedILi512EPKPdPKPKdEviT0_lllS7_lllT1_lli.uses_vcc, 1
	.set _ZL27rocblas_rotm_kernel_batchedILi512EPKPdPKPKdEviT0_lllS7_lllT1_lli.uses_flat_scratch, 1
	.set _ZL27rocblas_rotm_kernel_batchedILi512EPKPdPKPKdEviT0_lllS7_lllT1_lli.has_dyn_sized_stack, 0
	.set _ZL27rocblas_rotm_kernel_batchedILi512EPKPdPKPKdEviT0_lllS7_lllT1_lli.has_recursion, 0
	.set _ZL27rocblas_rotm_kernel_batchedILi512EPKPdPKPKdEviT0_lllS7_lllT1_lli.has_indirect_call, 0
	.section	.AMDGPU.csdata,"",@progbits
; Kernel info:
; codeLenInByte = 636
; TotalNumSgprs: 30
; NumVgprs: 24
; ScratchSize: 0
; MemoryBound: 0
; FloatMode: 240
; IeeeMode: 1
; LDSByteSize: 0 bytes/workgroup (compile time only)
; SGPRBlocks: 0
; VGPRBlocks: 1
; NumSGPRsForWavesPerEU: 30
; NumVGPRsForWavesPerEU: 24
; NamedBarCnt: 0
; Occupancy: 16
; WaveLimiterHint : 1
; COMPUTE_PGM_RSRC2:SCRATCH_EN: 0
; COMPUTE_PGM_RSRC2:USER_SGPR: 2
; COMPUTE_PGM_RSRC2:TRAP_HANDLER: 0
; COMPUTE_PGM_RSRC2:TGID_X_EN: 1
; COMPUTE_PGM_RSRC2:TGID_Y_EN: 0
; COMPUTE_PGM_RSRC2:TGID_Z_EN: 1
; COMPUTE_PGM_RSRC2:TIDIG_COMP_CNT: 0
	.section	.text._ZL27rocblas_rotm_kernel_regularILi512EKPdPKdEviPT0_lllS5_lllT1_S6_S6_S6_S6_,"axG",@progbits,_ZL27rocblas_rotm_kernel_regularILi512EKPdPKdEviPT0_lllS5_lllT1_S6_S6_S6_S6_,comdat
	.globl	_ZL27rocblas_rotm_kernel_regularILi512EKPdPKdEviPT0_lllS5_lllT1_S6_S6_S6_S6_ ; -- Begin function _ZL27rocblas_rotm_kernel_regularILi512EKPdPKdEviPT0_lllS5_lllT1_S6_S6_S6_S6_
	.p2align	8
	.type	_ZL27rocblas_rotm_kernel_regularILi512EKPdPKdEviPT0_lllS5_lllT1_S6_S6_S6_S6_,@function
_ZL27rocblas_rotm_kernel_regularILi512EKPdPKdEviPT0_lllS5_lllT1_S6_S6_S6_S6_: ; @_ZL27rocblas_rotm_kernel_regularILi512EKPdPKdEviPT0_lllS5_lllT1_S6_S6_S6_S6_
; %bb.0:
	s_load_b256 s[4:11], s[0:1], 0x48
	s_and_b32 s15, ttmp6, 15
	s_getreg_b32 s16, hwreg(HW_REG_IB_STS2, 6, 4)
	v_mov_b32_e32 v1, 0
	s_wait_kmcnt 0x0
	s_load_b64 s[2:3], s[4:5], 0x0
	s_clause 0x1
	s_load_b32 s12, s[0:1], 0x0
	s_load_b32 s14, s[0:1], 0x7c
	s_wait_xcnt 0x0
	s_bfe_u32 s5, ttmp6, 0x4000c
	s_delay_alu instid0(SALU_CYCLE_1) | instskip(NEXT) | instid1(SALU_CYCLE_1)
	s_add_co_i32 s5, s5, 1
	s_mul_i32 s5, ttmp9, s5
	s_delay_alu instid0(SALU_CYCLE_1)
	s_add_co_i32 s15, s15, s5
	s_wait_kmcnt 0x0
	v_cmp_neq_f64_e64 s4, s[2:3], -2.0
	s_ashr_i32 s13, s12, 31
	s_and_b32 s14, s14, 0xffff
	s_cmp_eq_u32 s16, 0
	s_cselect_b32 s5, ttmp9, s15
	s_delay_alu instid0(SALU_CYCLE_1) | instskip(NEXT) | instid1(VALU_DEP_1)
	v_mad_u32 v0, s5, s14, v0
	v_cmp_gt_i64_e32 vcc_lo, s[12:13], v[0:1]
	s_and_b32 s4, s4, vcc_lo
	s_delay_alu instid0(SALU_CYCLE_1)
	s_and_saveexec_b32 s5, s4
	s_cbranch_execz .LBB7_9
; %bb.1:
	s_clause 0x3
	s_load_b64 s[4:5], s[0:1], 0x18
	s_load_b64 s[20:21], s[0:1], 0x38
	s_load_b128 s[12:15], s[0:1], 0x8
	s_load_b128 s[16:19], s[0:1], 0x28
	s_wait_kmcnt 0x0
	v_mul_u64_e32 v[2:3], s[4:5], v[0:1]
	v_mul_u64_e32 v[0:1], s[20:21], v[0:1]
	s_load_b64 s[4:5], s[12:13], 0x0
	s_load_b64 s[20:21], s[16:17], 0x0
	s_wait_xcnt 0x0
	s_lshl_b64 s[12:13], s[14:15], 3
	s_lshl_b64 s[14:15], s[18:19], 3
	s_load_b64 s[16:17], s[0:1], 0x68
	v_cmp_nlt_f64_e64 s18, s[2:3], 0
	s_wait_kmcnt 0x0
	s_add_nc_u64 s[4:5], s[4:5], s[12:13]
	s_add_nc_u64 s[12:13], s[20:21], s[14:15]
	v_lshl_add_u64 v[2:3], v[2:3], 3, s[4:5]
	v_lshl_add_u64 v[0:1], v[0:1], 3, s[12:13]
	flat_load_b64 v[4:5], v[2:3]
	flat_load_b64 v[6:7], v[0:1]
	s_load_b64 s[4:5], s[6:7], 0x0
	s_load_b64 s[0:1], s[8:9], 0x0
	;; [unrolled: 1-line block ×4, first 2 shown]
	s_and_b32 vcc_lo, exec_lo, s18
	s_cbranch_vccz .LBB7_6
; %bb.2:
	v_cmp_neq_f64_e64 s2, s[2:3], 0
	s_and_b32 vcc_lo, exec_lo, s2
	s_cbranch_vccz .LBB7_10
; %bb.3:
	s_wait_loadcnt_dscnt 0x0
	s_wait_kmcnt 0x0
	v_fma_f64 v[10:11], s[4:5], v[4:5], v[6:7]
	v_fma_f64 v[8:9], s[12:13], v[6:7], -v[4:5]
	flat_store_b64 v[2:3], v[10:11]
	s_cbranch_execnz .LBB7_5
.LBB7_4:
	s_wait_loadcnt_dscnt 0x0
	s_wait_kmcnt 0x0
	v_fma_f64 v[10:11], s[14:15], v[6:7], v[4:5]
	v_fma_f64 v[8:9], s[0:1], v[4:5], v[6:7]
	flat_store_b64 v[2:3], v[10:11]
.LBB7_5:
	s_cbranch_execz .LBB7_7
	s_branch .LBB7_8
.LBB7_6:
                                        ; implicit-def: $vgpr8_vgpr9
.LBB7_7:
	s_wait_loadcnt_dscnt 0x0
	s_wait_kmcnt 0x0
	v_mul_f64_e32 v[10:11], s[14:15], v[6:7]
	v_mul_f64_e32 v[8:9], s[12:13], v[6:7]
	s_delay_alu instid0(VALU_DEP_2) | instskip(NEXT) | instid1(VALU_DEP_2)
	v_fmac_f64_e32 v[10:11], s[4:5], v[4:5]
	v_fmac_f64_e32 v[8:9], s[0:1], v[4:5]
	flat_store_b64 v[2:3], v[10:11]
.LBB7_8:
	flat_store_b64 v[0:1], v[8:9]
.LBB7_9:
	s_endpgm
.LBB7_10:
                                        ; implicit-def: $vgpr8_vgpr9
	s_branch .LBB7_4
	.section	.rodata,"a",@progbits
	.p2align	6, 0x0
	.amdhsa_kernel _ZL27rocblas_rotm_kernel_regularILi512EKPdPKdEviPT0_lllS5_lllT1_S6_S6_S6_S6_
		.amdhsa_group_segment_fixed_size 0
		.amdhsa_private_segment_fixed_size 0
		.amdhsa_kernarg_size 368
		.amdhsa_user_sgpr_count 2
		.amdhsa_user_sgpr_dispatch_ptr 0
		.amdhsa_user_sgpr_queue_ptr 0
		.amdhsa_user_sgpr_kernarg_segment_ptr 1
		.amdhsa_user_sgpr_dispatch_id 0
		.amdhsa_user_sgpr_kernarg_preload_length 0
		.amdhsa_user_sgpr_kernarg_preload_offset 0
		.amdhsa_user_sgpr_private_segment_size 0
		.amdhsa_wavefront_size32 1
		.amdhsa_uses_dynamic_stack 0
		.amdhsa_enable_private_segment 0
		.amdhsa_system_sgpr_workgroup_id_x 1
		.amdhsa_system_sgpr_workgroup_id_y 0
		.amdhsa_system_sgpr_workgroup_id_z 0
		.amdhsa_system_sgpr_workgroup_info 0
		.amdhsa_system_vgpr_workitem_id 0
		.amdhsa_next_free_vgpr 12
		.amdhsa_next_free_sgpr 22
		.amdhsa_named_barrier_count 0
		.amdhsa_reserve_vcc 1
		.amdhsa_float_round_mode_32 0
		.amdhsa_float_round_mode_16_64 0
		.amdhsa_float_denorm_mode_32 3
		.amdhsa_float_denorm_mode_16_64 3
		.amdhsa_fp16_overflow 0
		.amdhsa_memory_ordered 1
		.amdhsa_forward_progress 1
		.amdhsa_inst_pref_size 4
		.amdhsa_round_robin_scheduling 0
		.amdhsa_exception_fp_ieee_invalid_op 0
		.amdhsa_exception_fp_denorm_src 0
		.amdhsa_exception_fp_ieee_div_zero 0
		.amdhsa_exception_fp_ieee_overflow 0
		.amdhsa_exception_fp_ieee_underflow 0
		.amdhsa_exception_fp_ieee_inexact 0
		.amdhsa_exception_int_div_zero 0
	.end_amdhsa_kernel
	.section	.text._ZL27rocblas_rotm_kernel_regularILi512EKPdPKdEviPT0_lllS5_lllT1_S6_S6_S6_S6_,"axG",@progbits,_ZL27rocblas_rotm_kernel_regularILi512EKPdPKdEviPT0_lllS5_lllT1_S6_S6_S6_S6_,comdat
.Lfunc_end7:
	.size	_ZL27rocblas_rotm_kernel_regularILi512EKPdPKdEviPT0_lllS5_lllT1_S6_S6_S6_S6_, .Lfunc_end7-_ZL27rocblas_rotm_kernel_regularILi512EKPdPKdEviPT0_lllS5_lllT1_S6_S6_S6_S6_
                                        ; -- End function
	.set _ZL27rocblas_rotm_kernel_regularILi512EKPdPKdEviPT0_lllS5_lllT1_S6_S6_S6_S6_.num_vgpr, 12
	.set _ZL27rocblas_rotm_kernel_regularILi512EKPdPKdEviPT0_lllS5_lllT1_S6_S6_S6_S6_.num_agpr, 0
	.set _ZL27rocblas_rotm_kernel_regularILi512EKPdPKdEviPT0_lllS5_lllT1_S6_S6_S6_S6_.numbered_sgpr, 22
	.set _ZL27rocblas_rotm_kernel_regularILi512EKPdPKdEviPT0_lllS5_lllT1_S6_S6_S6_S6_.num_named_barrier, 0
	.set _ZL27rocblas_rotm_kernel_regularILi512EKPdPKdEviPT0_lllS5_lllT1_S6_S6_S6_S6_.private_seg_size, 0
	.set _ZL27rocblas_rotm_kernel_regularILi512EKPdPKdEviPT0_lllS5_lllT1_S6_S6_S6_S6_.uses_vcc, 1
	.set _ZL27rocblas_rotm_kernel_regularILi512EKPdPKdEviPT0_lllS5_lllT1_S6_S6_S6_S6_.uses_flat_scratch, 0
	.set _ZL27rocblas_rotm_kernel_regularILi512EKPdPKdEviPT0_lllS5_lllT1_S6_S6_S6_S6_.has_dyn_sized_stack, 0
	.set _ZL27rocblas_rotm_kernel_regularILi512EKPdPKdEviPT0_lllS5_lllT1_S6_S6_S6_S6_.has_recursion, 0
	.set _ZL27rocblas_rotm_kernel_regularILi512EKPdPKdEviPT0_lllS5_lllT1_S6_S6_S6_S6_.has_indirect_call, 0
	.section	.AMDGPU.csdata,"",@progbits
; Kernel info:
; codeLenInByte = 492
; TotalNumSgprs: 24
; NumVgprs: 12
; ScratchSize: 0
; MemoryBound: 0
; FloatMode: 240
; IeeeMode: 1
; LDSByteSize: 0 bytes/workgroup (compile time only)
; SGPRBlocks: 0
; VGPRBlocks: 0
; NumSGPRsForWavesPerEU: 24
; NumVGPRsForWavesPerEU: 12
; NamedBarCnt: 0
; Occupancy: 16
; WaveLimiterHint : 1
; COMPUTE_PGM_RSRC2:SCRATCH_EN: 0
; COMPUTE_PGM_RSRC2:USER_SGPR: 2
; COMPUTE_PGM_RSRC2:TRAP_HANDLER: 0
; COMPUTE_PGM_RSRC2:TGID_X_EN: 1
; COMPUTE_PGM_RSRC2:TGID_Y_EN: 0
; COMPUTE_PGM_RSRC2:TGID_Z_EN: 0
; COMPUTE_PGM_RSRC2:TIDIG_COMP_CNT: 0
	.section	.AMDGPU.gpr_maximums,"",@progbits
	.set amdgpu.max_num_vgpr, 0
	.set amdgpu.max_num_agpr, 0
	.set amdgpu.max_num_sgpr, 0
	.section	.AMDGPU.csdata,"",@progbits
	.type	__hip_cuid_33b3d18e13433a3,@object ; @__hip_cuid_33b3d18e13433a3
	.section	.bss,"aw",@nobits
	.globl	__hip_cuid_33b3d18e13433a3
__hip_cuid_33b3d18e13433a3:
	.byte	0                               ; 0x0
	.size	__hip_cuid_33b3d18e13433a3, 1

	.ident	"AMD clang version 22.0.0git (https://github.com/RadeonOpenCompute/llvm-project roc-7.2.4 26084 f58b06dce1f9c15707c5f808fd002e18c2accf7e)"
	.section	".note.GNU-stack","",@progbits
	.addrsig
	.addrsig_sym __hip_cuid_33b3d18e13433a3
	.amdgpu_metadata
---
amdhsa.kernels:
  - .args:
      - .offset:         0
        .size:           4
        .value_kind:     by_value
      - .address_space:  global
        .offset:         8
        .size:           8
        .value_kind:     global_buffer
      - .offset:         16
        .size:           8
        .value_kind:     by_value
      - .offset:         24
        .size:           8
        .value_kind:     by_value
      - .offset:         32
        .size:           8
        .value_kind:     by_value
      - .address_space:  global
        .offset:         40
        .size:           8
        .value_kind:     global_buffer
      - .offset:         48
        .size:           8
        .value_kind:     by_value
      - .offset:         56
        .size:           8
        .value_kind:     by_value
      - .offset:         64
        .size:           8
        .value_kind:     by_value
      - .address_space:  global
        .offset:         72
        .size:           8
        .value_kind:     global_buffer
      - .offset:         80
        .size:           8
        .value_kind:     by_value
      - .offset:         88
        .size:           8
        .value_kind:     by_value
      - .offset:         96
        .size:           4
        .value_kind:     by_value
      - .offset:         104
        .size:           4
        .value_kind:     hidden_block_count_x
      - .offset:         108
        .size:           4
        .value_kind:     hidden_block_count_y
      - .offset:         112
        .size:           4
        .value_kind:     hidden_block_count_z
      - .offset:         116
        .size:           2
        .value_kind:     hidden_group_size_x
      - .offset:         118
        .size:           2
        .value_kind:     hidden_group_size_y
      - .offset:         120
        .size:           2
        .value_kind:     hidden_group_size_z
      - .offset:         122
        .size:           2
        .value_kind:     hidden_remainder_x
      - .offset:         124
        .size:           2
        .value_kind:     hidden_remainder_y
      - .offset:         126
        .size:           2
        .value_kind:     hidden_remainder_z
      - .offset:         144
        .size:           8
        .value_kind:     hidden_global_offset_x
      - .offset:         152
        .size:           8
        .value_kind:     hidden_global_offset_y
      - .offset:         160
        .size:           8
        .value_kind:     hidden_global_offset_z
      - .offset:         168
        .size:           2
        .value_kind:     hidden_grid_dims
    .group_segment_fixed_size: 0
    .kernarg_segment_align: 8
    .kernarg_segment_size: 360
    .language:       OpenCL C
    .language_version:
      - 2
      - 0
    .max_flat_workgroup_size: 512
    .name:           _ZL27rocblas_rotm_kernel_batchedILi512EPfPKfEviT0_lllS3_lllT1_lli
    .private_segment_fixed_size: 0
    .sgpr_count:     34
    .sgpr_spill_count: 0
    .symbol:         _ZL27rocblas_rotm_kernel_batchedILi512EPfPKfEviT0_lllS3_lllT1_lli.kd
    .uniform_work_group_size: 1
    .uses_dynamic_stack: false
    .vgpr_count:     17
    .vgpr_spill_count: 0
    .wavefront_size: 32
  - .args:
      - .offset:         0
        .size:           4
        .value_kind:     by_value
      - .address_space:  global
        .offset:         8
        .size:           8
        .value_kind:     global_buffer
      - .offset:         16
        .size:           8
        .value_kind:     by_value
      - .offset:         24
        .size:           8
        .value_kind:     by_value
      - .offset:         32
        .size:           8
        .value_kind:     by_value
      - .address_space:  global
        .offset:         40
        .size:           8
        .value_kind:     global_buffer
      - .offset:         48
        .size:           8
        .value_kind:     by_value
      - .offset:         56
        .size:           8
        .value_kind:     by_value
      - .offset:         64
        .size:           8
        .value_kind:     by_value
      - .offset:         72
        .size:           4
        .value_kind:     by_value
      - .offset:         76
        .size:           4
        .value_kind:     by_value
      - .offset:         80
        .size:           4
        .value_kind:     by_value
      - .offset:         84
        .size:           4
        .value_kind:     by_value
      - .offset:         88
        .size:           4
        .value_kind:     by_value
      - .offset:         96
        .size:           4
        .value_kind:     hidden_block_count_x
      - .offset:         100
        .size:           4
        .value_kind:     hidden_block_count_y
      - .offset:         104
        .size:           4
        .value_kind:     hidden_block_count_z
      - .offset:         108
        .size:           2
        .value_kind:     hidden_group_size_x
      - .offset:         110
        .size:           2
        .value_kind:     hidden_group_size_y
      - .offset:         112
        .size:           2
        .value_kind:     hidden_group_size_z
      - .offset:         114
        .size:           2
        .value_kind:     hidden_remainder_x
      - .offset:         116
        .size:           2
        .value_kind:     hidden_remainder_y
      - .offset:         118
        .size:           2
        .value_kind:     hidden_remainder_z
      - .offset:         136
        .size:           8
        .value_kind:     hidden_global_offset_x
      - .offset:         144
        .size:           8
        .value_kind:     hidden_global_offset_y
      - .offset:         152
        .size:           8
        .value_kind:     hidden_global_offset_z
      - .offset:         160
        .size:           2
        .value_kind:     hidden_grid_dims
    .group_segment_fixed_size: 0
    .kernarg_segment_align: 8
    .kernarg_segment_size: 352
    .language:       OpenCL C
    .language_version:
      - 2
      - 0
    .max_flat_workgroup_size: 512
    .name:           _ZL27rocblas_rotm_kernel_regularILi512EffEviPT0_lllS1_lllT1_S2_S2_S2_S2_
    .private_segment_fixed_size: 0
    .sgpr_count:     18
    .sgpr_spill_count: 0
    .symbol:         _ZL27rocblas_rotm_kernel_regularILi512EffEviPT0_lllS1_lllT1_S2_S2_S2_S2_.kd
    .uniform_work_group_size: 1
    .uses_dynamic_stack: false
    .vgpr_count:     10
    .vgpr_spill_count: 0
    .wavefront_size: 32
  - .args:
      - .offset:         0
        .size:           4
        .value_kind:     by_value
      - .address_space:  global
        .offset:         8
        .size:           8
        .value_kind:     global_buffer
      - .offset:         16
        .size:           8
        .value_kind:     by_value
      - .offset:         24
        .size:           8
        .value_kind:     by_value
      - .offset:         32
        .size:           8
        .value_kind:     by_value
      - .address_space:  global
        .offset:         40
        .size:           8
        .value_kind:     global_buffer
      - .offset:         48
        .size:           8
        .value_kind:     by_value
      - .offset:         56
        .size:           8
        .value_kind:     by_value
      - .offset:         64
        .size:           8
        .value_kind:     by_value
      - .address_space:  global
        .offset:         72
        .size:           8
        .value_kind:     global_buffer
      - .offset:         80
        .size:           8
        .value_kind:     by_value
      - .offset:         88
        .size:           8
        .value_kind:     by_value
      - .offset:         96
        .size:           4
        .value_kind:     by_value
      - .offset:         104
        .size:           4
        .value_kind:     hidden_block_count_x
      - .offset:         108
        .size:           4
        .value_kind:     hidden_block_count_y
      - .offset:         112
        .size:           4
        .value_kind:     hidden_block_count_z
      - .offset:         116
        .size:           2
        .value_kind:     hidden_group_size_x
      - .offset:         118
        .size:           2
        .value_kind:     hidden_group_size_y
      - .offset:         120
        .size:           2
        .value_kind:     hidden_group_size_z
      - .offset:         122
        .size:           2
        .value_kind:     hidden_remainder_x
      - .offset:         124
        .size:           2
        .value_kind:     hidden_remainder_y
      - .offset:         126
        .size:           2
        .value_kind:     hidden_remainder_z
      - .offset:         144
        .size:           8
        .value_kind:     hidden_global_offset_x
      - .offset:         152
        .size:           8
        .value_kind:     hidden_global_offset_y
      - .offset:         160
        .size:           8
        .value_kind:     hidden_global_offset_z
      - .offset:         168
        .size:           2
        .value_kind:     hidden_grid_dims
    .group_segment_fixed_size: 0
    .kernarg_segment_align: 8
    .kernarg_segment_size: 360
    .language:       OpenCL C
    .language_version:
      - 2
      - 0
    .max_flat_workgroup_size: 512
    .name:           _ZL27rocblas_rotm_kernel_batchedILi512EPdPKdEviT0_lllS3_lllT1_lli
    .private_segment_fixed_size: 0
    .sgpr_count:     34
    .sgpr_spill_count: 0
    .symbol:         _ZL27rocblas_rotm_kernel_batchedILi512EPdPKdEviT0_lllS3_lllT1_lli.kd
    .uniform_work_group_size: 1
    .uses_dynamic_stack: false
    .vgpr_count:     26
    .vgpr_spill_count: 0
    .wavefront_size: 32
  - .args:
      - .offset:         0
        .size:           4
        .value_kind:     by_value
      - .address_space:  global
        .offset:         8
        .size:           8
        .value_kind:     global_buffer
      - .offset:         16
        .size:           8
        .value_kind:     by_value
      - .offset:         24
        .size:           8
        .value_kind:     by_value
      - .offset:         32
        .size:           8
        .value_kind:     by_value
      - .address_space:  global
        .offset:         40
        .size:           8
        .value_kind:     global_buffer
      - .offset:         48
        .size:           8
        .value_kind:     by_value
      - .offset:         56
        .size:           8
        .value_kind:     by_value
      - .offset:         64
        .size:           8
        .value_kind:     by_value
      - .offset:         72
        .size:           8
        .value_kind:     by_value
      - .offset:         80
        .size:           8
        .value_kind:     by_value
      - .offset:         88
        .size:           8
        .value_kind:     by_value
      - .offset:         96
        .size:           8
        .value_kind:     by_value
      - .offset:         104
        .size:           8
        .value_kind:     by_value
      - .offset:         112
        .size:           4
        .value_kind:     hidden_block_count_x
      - .offset:         116
        .size:           4
        .value_kind:     hidden_block_count_y
      - .offset:         120
        .size:           4
        .value_kind:     hidden_block_count_z
      - .offset:         124
        .size:           2
        .value_kind:     hidden_group_size_x
      - .offset:         126
        .size:           2
        .value_kind:     hidden_group_size_y
      - .offset:         128
        .size:           2
        .value_kind:     hidden_group_size_z
      - .offset:         130
        .size:           2
        .value_kind:     hidden_remainder_x
      - .offset:         132
        .size:           2
        .value_kind:     hidden_remainder_y
      - .offset:         134
        .size:           2
        .value_kind:     hidden_remainder_z
      - .offset:         152
        .size:           8
        .value_kind:     hidden_global_offset_x
      - .offset:         160
        .size:           8
        .value_kind:     hidden_global_offset_y
      - .offset:         168
        .size:           8
        .value_kind:     hidden_global_offset_z
      - .offset:         176
        .size:           2
        .value_kind:     hidden_grid_dims
    .group_segment_fixed_size: 0
    .kernarg_segment_align: 8
    .kernarg_segment_size: 368
    .language:       OpenCL C
    .language_version:
      - 2
      - 0
    .max_flat_workgroup_size: 512
    .name:           _ZL27rocblas_rotm_kernel_regularILi512EddEviPT0_lllS1_lllT1_S2_S2_S2_S2_
    .private_segment_fixed_size: 0
    .sgpr_count:     22
    .sgpr_spill_count: 0
    .symbol:         _ZL27rocblas_rotm_kernel_regularILi512EddEviPT0_lllS1_lllT1_S2_S2_S2_S2_.kd
    .uniform_work_group_size: 1
    .uses_dynamic_stack: false
    .vgpr_count:     12
    .vgpr_spill_count: 0
    .wavefront_size: 32
  - .args:
      - .offset:         0
        .size:           4
        .value_kind:     by_value
      - .address_space:  global
        .offset:         8
        .size:           8
        .value_kind:     global_buffer
      - .offset:         16
        .size:           8
        .value_kind:     by_value
      - .offset:         24
        .size:           8
        .value_kind:     by_value
      - .offset:         32
        .size:           8
        .value_kind:     by_value
      - .address_space:  global
        .offset:         40
        .size:           8
        .value_kind:     global_buffer
      - .offset:         48
        .size:           8
        .value_kind:     by_value
      - .offset:         56
        .size:           8
        .value_kind:     by_value
      - .offset:         64
        .size:           8
        .value_kind:     by_value
      - .address_space:  global
        .offset:         72
        .size:           8
        .value_kind:     global_buffer
      - .offset:         80
        .size:           8
        .value_kind:     by_value
      - .offset:         88
        .size:           8
        .value_kind:     by_value
      - .offset:         96
        .size:           4
        .value_kind:     by_value
      - .offset:         104
        .size:           4
        .value_kind:     hidden_block_count_x
      - .offset:         108
        .size:           4
        .value_kind:     hidden_block_count_y
      - .offset:         112
        .size:           4
        .value_kind:     hidden_block_count_z
      - .offset:         116
        .size:           2
        .value_kind:     hidden_group_size_x
      - .offset:         118
        .size:           2
        .value_kind:     hidden_group_size_y
      - .offset:         120
        .size:           2
        .value_kind:     hidden_group_size_z
      - .offset:         122
        .size:           2
        .value_kind:     hidden_remainder_x
      - .offset:         124
        .size:           2
        .value_kind:     hidden_remainder_y
      - .offset:         126
        .size:           2
        .value_kind:     hidden_remainder_z
      - .offset:         144
        .size:           8
        .value_kind:     hidden_global_offset_x
      - .offset:         152
        .size:           8
        .value_kind:     hidden_global_offset_y
      - .offset:         160
        .size:           8
        .value_kind:     hidden_global_offset_z
      - .offset:         168
        .size:           2
        .value_kind:     hidden_grid_dims
    .group_segment_fixed_size: 0
    .kernarg_segment_align: 8
    .kernarg_segment_size: 360
    .language:       OpenCL C
    .language_version:
      - 2
      - 0
    .max_flat_workgroup_size: 512
    .name:           _ZL27rocblas_rotm_kernel_batchedILi512EPKPfPKPKfEviT0_lllS7_lllT1_lli
    .private_segment_fixed_size: 0
    .sgpr_count:     30
    .sgpr_spill_count: 0
    .symbol:         _ZL27rocblas_rotm_kernel_batchedILi512EPKPfPKPKfEviT0_lllS7_lllT1_lli.kd
    .uniform_work_group_size: 1
    .uses_dynamic_stack: false
    .vgpr_count:     16
    .vgpr_spill_count: 0
    .wavefront_size: 32
  - .args:
      - .offset:         0
        .size:           4
        .value_kind:     by_value
      - .address_space:  global
        .offset:         8
        .size:           8
        .value_kind:     global_buffer
      - .offset:         16
        .size:           8
        .value_kind:     by_value
      - .offset:         24
        .size:           8
        .value_kind:     by_value
      - .offset:         32
        .size:           8
        .value_kind:     by_value
      - .address_space:  global
        .offset:         40
        .size:           8
        .value_kind:     global_buffer
      - .offset:         48
        .size:           8
        .value_kind:     by_value
      - .offset:         56
        .size:           8
        .value_kind:     by_value
      - .offset:         64
        .size:           8
        .value_kind:     by_value
      - .address_space:  global
        .offset:         72
        .size:           8
        .value_kind:     global_buffer
      - .address_space:  global
        .offset:         80
        .size:           8
        .value_kind:     global_buffer
      - .address_space:  global
        .offset:         88
        .size:           8
        .value_kind:     global_buffer
      - .address_space:  global
        .offset:         96
        .size:           8
        .value_kind:     global_buffer
      - .address_space:  global
        .offset:         104
        .size:           8
        .value_kind:     global_buffer
      - .offset:         112
        .size:           4
        .value_kind:     hidden_block_count_x
      - .offset:         116
        .size:           4
        .value_kind:     hidden_block_count_y
      - .offset:         120
        .size:           4
        .value_kind:     hidden_block_count_z
      - .offset:         124
        .size:           2
        .value_kind:     hidden_group_size_x
      - .offset:         126
        .size:           2
        .value_kind:     hidden_group_size_y
      - .offset:         128
        .size:           2
        .value_kind:     hidden_group_size_z
      - .offset:         130
        .size:           2
        .value_kind:     hidden_remainder_x
      - .offset:         132
        .size:           2
        .value_kind:     hidden_remainder_y
      - .offset:         134
        .size:           2
        .value_kind:     hidden_remainder_z
      - .offset:         152
        .size:           8
        .value_kind:     hidden_global_offset_x
      - .offset:         160
        .size:           8
        .value_kind:     hidden_global_offset_y
      - .offset:         168
        .size:           8
        .value_kind:     hidden_global_offset_z
      - .offset:         176
        .size:           2
        .value_kind:     hidden_grid_dims
    .group_segment_fixed_size: 0
    .kernarg_segment_align: 8
    .kernarg_segment_size: 368
    .language:       OpenCL C
    .language_version:
      - 2
      - 0
    .max_flat_workgroup_size: 512
    .name:           _ZL27rocblas_rotm_kernel_regularILi512EKPfPKfEviPT0_lllS5_lllT1_S6_S6_S6_S6_
    .private_segment_fixed_size: 0
    .sgpr_count:     24
    .sgpr_spill_count: 0
    .symbol:         _ZL27rocblas_rotm_kernel_regularILi512EKPfPKfEviPT0_lllS5_lllT1_S6_S6_S6_S6_.kd
    .uniform_work_group_size: 1
    .uses_dynamic_stack: false
    .vgpr_count:     10
    .vgpr_spill_count: 0
    .wavefront_size: 32
  - .args:
      - .offset:         0
        .size:           4
        .value_kind:     by_value
      - .address_space:  global
        .offset:         8
        .size:           8
        .value_kind:     global_buffer
      - .offset:         16
        .size:           8
        .value_kind:     by_value
      - .offset:         24
        .size:           8
        .value_kind:     by_value
      - .offset:         32
        .size:           8
        .value_kind:     by_value
      - .address_space:  global
        .offset:         40
        .size:           8
        .value_kind:     global_buffer
      - .offset:         48
        .size:           8
        .value_kind:     by_value
      - .offset:         56
        .size:           8
        .value_kind:     by_value
      - .offset:         64
        .size:           8
        .value_kind:     by_value
      - .address_space:  global
        .offset:         72
        .size:           8
        .value_kind:     global_buffer
      - .offset:         80
        .size:           8
        .value_kind:     by_value
      - .offset:         88
        .size:           8
        .value_kind:     by_value
      - .offset:         96
        .size:           4
        .value_kind:     by_value
      - .offset:         104
        .size:           4
        .value_kind:     hidden_block_count_x
      - .offset:         108
        .size:           4
        .value_kind:     hidden_block_count_y
      - .offset:         112
        .size:           4
        .value_kind:     hidden_block_count_z
      - .offset:         116
        .size:           2
        .value_kind:     hidden_group_size_x
      - .offset:         118
        .size:           2
        .value_kind:     hidden_group_size_y
      - .offset:         120
        .size:           2
        .value_kind:     hidden_group_size_z
      - .offset:         122
        .size:           2
        .value_kind:     hidden_remainder_x
      - .offset:         124
        .size:           2
        .value_kind:     hidden_remainder_y
      - .offset:         126
        .size:           2
        .value_kind:     hidden_remainder_z
      - .offset:         144
        .size:           8
        .value_kind:     hidden_global_offset_x
      - .offset:         152
        .size:           8
        .value_kind:     hidden_global_offset_y
      - .offset:         160
        .size:           8
        .value_kind:     hidden_global_offset_z
      - .offset:         168
        .size:           2
        .value_kind:     hidden_grid_dims
    .group_segment_fixed_size: 0
    .kernarg_segment_align: 8
    .kernarg_segment_size: 360
    .language:       OpenCL C
    .language_version:
      - 2
      - 0
    .max_flat_workgroup_size: 512
    .name:           _ZL27rocblas_rotm_kernel_batchedILi512EPKPdPKPKdEviT0_lllS7_lllT1_lli
    .private_segment_fixed_size: 0
    .sgpr_count:     30
    .sgpr_spill_count: 0
    .symbol:         _ZL27rocblas_rotm_kernel_batchedILi512EPKPdPKPKdEviT0_lllS7_lllT1_lli.kd
    .uniform_work_group_size: 1
    .uses_dynamic_stack: false
    .vgpr_count:     24
    .vgpr_spill_count: 0
    .wavefront_size: 32
  - .args:
      - .offset:         0
        .size:           4
        .value_kind:     by_value
      - .address_space:  global
        .offset:         8
        .size:           8
        .value_kind:     global_buffer
      - .offset:         16
        .size:           8
        .value_kind:     by_value
      - .offset:         24
        .size:           8
        .value_kind:     by_value
      - .offset:         32
        .size:           8
        .value_kind:     by_value
      - .address_space:  global
        .offset:         40
        .size:           8
        .value_kind:     global_buffer
      - .offset:         48
        .size:           8
        .value_kind:     by_value
      - .offset:         56
        .size:           8
        .value_kind:     by_value
      - .offset:         64
        .size:           8
        .value_kind:     by_value
      - .address_space:  global
        .offset:         72
        .size:           8
        .value_kind:     global_buffer
      - .address_space:  global
        .offset:         80
        .size:           8
        .value_kind:     global_buffer
      - .address_space:  global
        .offset:         88
        .size:           8
        .value_kind:     global_buffer
      - .address_space:  global
        .offset:         96
        .size:           8
        .value_kind:     global_buffer
      - .address_space:  global
        .offset:         104
        .size:           8
        .value_kind:     global_buffer
      - .offset:         112
        .size:           4
        .value_kind:     hidden_block_count_x
      - .offset:         116
        .size:           4
        .value_kind:     hidden_block_count_y
      - .offset:         120
        .size:           4
        .value_kind:     hidden_block_count_z
      - .offset:         124
        .size:           2
        .value_kind:     hidden_group_size_x
      - .offset:         126
        .size:           2
        .value_kind:     hidden_group_size_y
      - .offset:         128
        .size:           2
        .value_kind:     hidden_group_size_z
      - .offset:         130
        .size:           2
        .value_kind:     hidden_remainder_x
      - .offset:         132
        .size:           2
        .value_kind:     hidden_remainder_y
      - .offset:         134
        .size:           2
        .value_kind:     hidden_remainder_z
      - .offset:         152
        .size:           8
        .value_kind:     hidden_global_offset_x
      - .offset:         160
        .size:           8
        .value_kind:     hidden_global_offset_y
      - .offset:         168
        .size:           8
        .value_kind:     hidden_global_offset_z
      - .offset:         176
        .size:           2
        .value_kind:     hidden_grid_dims
    .group_segment_fixed_size: 0
    .kernarg_segment_align: 8
    .kernarg_segment_size: 368
    .language:       OpenCL C
    .language_version:
      - 2
      - 0
    .max_flat_workgroup_size: 512
    .name:           _ZL27rocblas_rotm_kernel_regularILi512EKPdPKdEviPT0_lllS5_lllT1_S6_S6_S6_S6_
    .private_segment_fixed_size: 0
    .sgpr_count:     24
    .sgpr_spill_count: 0
    .symbol:         _ZL27rocblas_rotm_kernel_regularILi512EKPdPKdEviPT0_lllS5_lllT1_S6_S6_S6_S6_.kd
    .uniform_work_group_size: 1
    .uses_dynamic_stack: false
    .vgpr_count:     12
    .vgpr_spill_count: 0
    .wavefront_size: 32
amdhsa.target:   amdgcn-amd-amdhsa--gfx1250
amdhsa.version:
  - 1
  - 2
...

	.end_amdgpu_metadata
